;; amdgpu-corpus repo=ROCm/rocFFT kind=compiled arch=gfx1030 opt=O3
	.text
	.amdgcn_target "amdgcn-amd-amdhsa--gfx1030"
	.amdhsa_code_object_version 6
	.protected	bluestein_single_fwd_len1728_dim1_half_op_CI_CI ; -- Begin function bluestein_single_fwd_len1728_dim1_half_op_CI_CI
	.globl	bluestein_single_fwd_len1728_dim1_half_op_CI_CI
	.p2align	8
	.type	bluestein_single_fwd_len1728_dim1_half_op_CI_CI,@function
bluestein_single_fwd_len1728_dim1_half_op_CI_CI: ; @bluestein_single_fwd_len1728_dim1_half_op_CI_CI
; %bb.0:
	s_load_dwordx4 s[12:15], s[4:5], 0x28
	v_mul_u32_u24_e32 v1, 0x25f, v0
	v_mov_b32_e32 v46, 0
	s_mov_b32 s0, exec_lo
	v_lshrrev_b32_e32 v1, 16, v1
	v_add_nc_u32_e32 v45, s6, v1
	s_waitcnt lgkmcnt(0)
	v_cmpx_gt_u64_e64 s[12:13], v[45:46]
	s_cbranch_execz .LBB0_31
; %bb.1:
	s_clause 0x1
	s_load_dwordx4 s[0:3], s[4:5], 0x18
	s_load_dwordx2 s[12:13], s[4:5], 0x0
	v_mul_lo_u16 v1, 0x6c, v1
	v_sub_nc_u16 v9, v0, v1
	v_and_b32_e32 v76, 0xffff, v9
	v_or_b32_e32 v73, 0x480, v76
	v_lshlrev_b32_e32 v62, 2, v76
	s_waitcnt lgkmcnt(0)
	s_load_dwordx4 s[8:11], s[0:1], 0x0
	s_clause 0x1
	global_load_dword v79, v62, s[12:13]
	global_load_dword v75, v62, s[12:13] offset:432
	v_add_co_u32 v10, s0, s12, v62
	v_add_co_ci_u32_e64 v11, null, s13, 0, s0
	v_lshlrev_b32_e32 v54, 2, v73
	v_add_co_u32 v43, vcc_lo, 0x800, v10
	v_add_co_ci_u32_e32 v44, vcc_lo, 0, v11, vcc_lo
	v_add_co_u32 v39, vcc_lo, 0x1000, v10
	v_add_co_ci_u32_e32 v40, vcc_lo, 0, v11, vcc_lo
	global_load_dword v77, v54, s[12:13]
	s_waitcnt lgkmcnt(0)
	v_mad_u64_u32 v[0:1], null, s10, v45, 0
	v_mad_u64_u32 v[2:3], null, s8, v76, 0
	;; [unrolled: 1-line block ×3, first 2 shown]
	s_mul_i32 s1, s9, 0x240
	s_mul_hi_u32 s6, s8, 0x240
	s_mul_i32 s0, s8, 0x240
	s_add_i32 s1, s6, s1
	v_mad_u64_u32 v[6:7], null, s11, v45, v[1:2]
	v_mad_u64_u32 v[7:8], null, s9, v76, v[3:4]
	s_mul_i32 s6, s9, 0xfffffbec
	v_mov_b32_e32 v1, v6
	v_mad_u64_u32 v[5:6], null, s9, v73, v[5:6]
	v_mov_b32_e32 v3, v7
	v_lshlrev_b64 v[0:1], 2, v[0:1]
	v_lshlrev_b64 v[2:3], 2, v[2:3]
	;; [unrolled: 1-line block ×3, first 2 shown]
	v_add_co_u32 v6, vcc_lo, s14, v0
	v_add_co_ci_u32_e32 v7, vcc_lo, s15, v1, vcc_lo
	s_lshl_b64 s[14:15], s[0:1], 2
	v_add_co_u32 v0, vcc_lo, v6, v2
	v_add_co_ci_u32_e32 v1, vcc_lo, v7, v3, vcc_lo
	s_mul_i32 s0, s9, 0xfffff8b0
	v_add_co_u32 v2, vcc_lo, v0, s14
	v_add_co_ci_u32_e32 v3, vcc_lo, s15, v1, vcc_lo
	global_load_dword v8, v[0:1], off
	v_add_co_u32 v4, vcc_lo, v6, v4
	v_mad_u64_u32 v[0:1], null, 0xfffff8b0, s8, v[2:3]
	s_sub_i32 s0, s0, s8
	v_add_co_ci_u32_e32 v5, vcc_lo, v7, v5, vcc_lo
	s_clause 0x1
	global_load_dword v78, v[43:44], off offset:256
	global_load_dword v74, v[43:44], off offset:688
	s_clause 0x1
	global_load_dword v6, v[2:3], off
	global_load_dword v7, v[4:5], off
	v_add_nc_u32_e32 v1, s0, v1
	s_mul_hi_u32 s1, s8, 0xfffffbec
	s_mul_i32 s0, s8, 0xfffffbec
	s_sub_i32 s1, s1, s8
	global_load_dword v12, v[0:1], off
	v_add_co_u32 v0, vcc_lo, v0, s14
	v_add_co_ci_u32_e32 v1, vcc_lo, s15, v1, vcc_lo
	s_add_i32 s1, s1, s6
	v_add_co_u32 v2, vcc_lo, v0, s14
	v_add_co_ci_u32_e32 v3, vcc_lo, s15, v1, vcc_lo
	s_lshl_b64 s[0:1], s[0:1], 2
	global_load_dword v13, v[0:1], off
	v_add_co_u32 v0, vcc_lo, v2, s0
	v_add_co_ci_u32_e32 v1, vcc_lo, s1, v3, vcc_lo
	s_clause 0x1
	global_load_dword v71, v62, s[12:13] offset:864
	global_load_dword v68, v62, s[12:13] offset:1296
	global_load_dword v14, v[2:3], off
	s_clause 0x1
	global_load_dword v72, v[39:40], off offset:944
	global_load_dword v70, v[43:44], off offset:1120
	global_load_dword v15, v[0:1], off
	v_add_co_u32 v0, vcc_lo, v0, s14
	v_add_co_ci_u32_e32 v1, vcc_lo, s15, v1, vcc_lo
	s_clause 0x1
	global_load_dword v69, v[39:40], off offset:1376
	global_load_dword v67, v[43:44], off offset:1552
	v_add_co_u32 v2, vcc_lo, v0, s14
	v_add_co_ci_u32_e32 v3, vcc_lo, s15, v1, vcc_lo
	global_load_dword v16, v[0:1], off
	v_add_co_u32 v0, vcc_lo, v2, s0
	v_add_co_ci_u32_e32 v1, vcc_lo, s1, v3, vcc_lo
	global_load_dword v17, v[2:3], off
	;; [unrolled: 3-line block ×4, first 2 shown]
	v_add_co_u32 v2, vcc_lo, v0, s0
	v_add_co_ci_u32_e32 v3, vcc_lo, s1, v1, vcc_lo
	v_add_co_u32 v4, vcc_lo, v2, s14
	v_add_co_ci_u32_e32 v5, vcc_lo, s15, v3, vcc_lo
	global_load_dword v20, v[0:1], off
	s_clause 0x1
	global_load_dword v65, v62, s[12:13] offset:1728
	global_load_dword v66, v[39:40], off offset:1808
	global_load_dword v21, v[2:3], off
	global_load_dword v22, v[4:5], off
	v_add_co_u32 v0, vcc_lo, v4, s14
	v_add_co_ci_u32_e32 v1, vcc_lo, s15, v5, vcc_lo
	v_add_co_u32 v41, vcc_lo, 0x1800, v10
	v_add_co_ci_u32_e32 v42, vcc_lo, 0, v11, vcc_lo
	global_load_dword v5, v[0:1], off
	s_clause 0x1
	global_load_dword v64, v[43:44], off offset:1984
	global_load_dword v63, v[41:42], off offset:192
	s_load_dwordx2 s[6:7], s[4:5], 0x38
	s_load_dwordx4 s[8:11], s[2:3], 0x0
	v_add_nc_u32_e32 v2, 0xa00, v62
	v_add_nc_u32_e32 v11, 0x1200, v62
	;; [unrolled: 1-line block ×4, first 2 shown]
	v_cmp_gt_u16_e32 vcc_lo, 36, v9
	s_waitcnt vmcnt(26)
	v_lshrrev_b32_e32 v10, 16, v8
	v_mul_f16_sdwa v23, v79, v8 dst_sel:DWORD dst_unused:UNUSED_PAD src0_sel:WORD_1 src1_sel:DWORD
	v_mul_f16_sdwa v24, v79, v10 dst_sel:DWORD dst_unused:UNUSED_PAD src0_sel:WORD_1 src1_sel:DWORD
	v_fma_f16 v10, v79, v10, -v23
	s_waitcnt vmcnt(23)
	v_lshrrev_b32_e32 v25, 16, v6
	s_waitcnt vmcnt(22)
	v_lshrrev_b32_e32 v26, 16, v7
	v_mul_f16_sdwa v23, v78, v6 dst_sel:DWORD dst_unused:UNUSED_PAD src0_sel:WORD_1 src1_sel:DWORD
	v_mul_f16_sdwa v27, v77, v7 dst_sel:DWORD dst_unused:UNUSED_PAD src0_sel:WORD_1 src1_sel:DWORD
	v_fmac_f16_e32 v24, v79, v8
	v_mul_f16_sdwa v28, v78, v25 dst_sel:DWORD dst_unused:UNUSED_PAD src0_sel:WORD_1 src1_sel:DWORD
	v_mul_f16_sdwa v29, v77, v26 dst_sel:DWORD dst_unused:UNUSED_PAD src0_sel:WORD_1 src1_sel:DWORD
	v_fma_f16 v8, v78, v25, -v23
	v_fma_f16 v23, v77, v26, -v27
	v_pack_b32_f16 v10, v24, v10
	v_fmac_f16_e32 v28, v78, v6
	v_fmac_f16_e32 v29, v77, v7
	s_waitcnt vmcnt(21)
	v_lshrrev_b32_e32 v6, 16, v12
	v_mul_f16_sdwa v7, v75, v12 dst_sel:DWORD dst_unused:UNUSED_PAD src0_sel:WORD_1 src1_sel:DWORD
	v_pack_b32_f16 v8, v28, v8
	v_pack_b32_f16 v23, v29, v23
	v_mul_f16_sdwa v24, v75, v6 dst_sel:DWORD dst_unused:UNUSED_PAD src0_sel:WORD_1 src1_sel:DWORD
	v_fma_f16 v6, v75, v6, -v7
	s_waitcnt vmcnt(20)
	v_lshrrev_b32_e32 v7, 16, v13
	v_mul_f16_sdwa v25, v74, v13 dst_sel:DWORD dst_unused:UNUSED_PAD src0_sel:WORD_1 src1_sel:DWORD
	ds_write_b32 v62, v8 offset:2304
	ds_write_b32 v62, v23 offset:4608
	v_fmac_f16_e32 v24, v75, v12
	s_waitcnt vmcnt(17)
	v_lshrrev_b32_e32 v12, 16, v14
	v_mul_f16_sdwa v8, v74, v7 dst_sel:DWORD dst_unused:UNUSED_PAD src0_sel:WORD_1 src1_sel:DWORD
	s_waitcnt vmcnt(16)
	v_mul_f16_sdwa v23, v72, v14 dst_sel:DWORD dst_unused:UNUSED_PAD src0_sel:WORD_1 src1_sel:DWORD
	v_fma_f16 v7, v74, v7, -v25
	v_pack_b32_f16 v6, v24, v6
	s_waitcnt vmcnt(14)
	v_mul_f16_sdwa v24, v71, v15 dst_sel:DWORD dst_unused:UNUSED_PAD src0_sel:WORD_1 src1_sel:DWORD
	v_fmac_f16_e32 v8, v74, v13
	v_mul_f16_sdwa v13, v72, v12 dst_sel:DWORD dst_unused:UNUSED_PAD src0_sel:WORD_1 src1_sel:DWORD
	v_fma_f16 v12, v72, v12, -v23
	v_lshrrev_b32_e32 v23, 16, v15
	ds_write2_b32 v62, v10, v6 offset1:108
	v_pack_b32_f16 v6, v8, v7
	v_fmac_f16_e32 v13, v72, v14
	s_waitcnt vmcnt(11)
	v_lshrrev_b32_e32 v8, 16, v16
	v_mul_f16_sdwa v7, v71, v23 dst_sel:DWORD dst_unused:UNUSED_PAD src0_sel:WORD_1 src1_sel:DWORD
	v_fma_f16 v10, v71, v23, -v24
	v_mul_f16_sdwa v14, v70, v16 dst_sel:DWORD dst_unused:UNUSED_PAD src0_sel:WORD_1 src1_sel:DWORD
	v_pack_b32_f16 v12, v13, v12
	v_mul_f16_sdwa v13, v70, v8 dst_sel:DWORD dst_unused:UNUSED_PAD src0_sel:WORD_1 src1_sel:DWORD
	v_fmac_f16_e32 v7, v71, v15
	s_waitcnt vmcnt(10)
	v_lshrrev_b32_e32 v15, 16, v17
	v_fma_f16 v8, v70, v8, -v14
	v_mul_f16_sdwa v14, v69, v17 dst_sel:DWORD dst_unused:UNUSED_PAD src0_sel:WORD_1 src1_sel:DWORD
	v_fmac_f16_e32 v13, v70, v16
	v_pack_b32_f16 v7, v7, v10
	v_mul_f16_sdwa v10, v69, v15 dst_sel:DWORD dst_unused:UNUSED_PAD src0_sel:WORD_1 src1_sel:DWORD
	s_waitcnt vmcnt(9)
	v_lshrrev_b32_e32 v16, 16, v18
	v_mul_f16_sdwa v23, v68, v18 dst_sel:DWORD dst_unused:UNUSED_PAD src0_sel:WORD_1 src1_sel:DWORD
	v_fma_f16 v14, v69, v15, -v14
	v_pack_b32_f16 v8, v13, v8
	v_fmac_f16_e32 v10, v69, v17
	v_mul_f16_sdwa v13, v68, v16 dst_sel:DWORD dst_unused:UNUSED_PAD src0_sel:WORD_1 src1_sel:DWORD
	v_fma_f16 v15, v68, v16, -v23
	s_waitcnt vmcnt(8)
	v_lshrrev_b32_e32 v16, 16, v19
	v_mul_f16_sdwa v17, v67, v19 dst_sel:DWORD dst_unused:UNUSED_PAD src0_sel:WORD_1 src1_sel:DWORD
	ds_write2_b32 v2, v6, v8 offset0:44 offset1:152
	v_pack_b32_f16 v6, v10, v14
	v_fmac_f16_e32 v13, v68, v18
	s_waitcnt vmcnt(7)
	v_lshrrev_b32_e32 v10, 16, v20
	v_mul_f16_sdwa v8, v67, v16 dst_sel:DWORD dst_unused:UNUSED_PAD src0_sel:WORD_1 src1_sel:DWORD
	v_fma_f16 v14, v67, v16, -v17
	s_waitcnt vmcnt(5)
	v_mul_f16_sdwa v16, v66, v20 dst_sel:DWORD dst_unused:UNUSED_PAD src0_sel:WORD_1 src1_sel:DWORD
	ds_write2_b32 v11, v12, v6 offset0:108 offset1:216
	s_waitcnt vmcnt(4)
	v_lshrrev_b32_e32 v12, 16, v21
	v_pack_b32_f16 v6, v13, v15
	v_mul_f16_sdwa v13, v65, v21 dst_sel:DWORD dst_unused:UNUSED_PAD src0_sel:WORD_1 src1_sel:DWORD
	s_waitcnt vmcnt(3)
	v_lshrrev_b32_e32 v15, 16, v22
	v_mul_f16_sdwa v11, v66, v10 dst_sel:DWORD dst_unused:UNUSED_PAD src0_sel:WORD_1 src1_sel:DWORD
	s_waitcnt vmcnt(2)
	v_lshrrev_b32_e32 v17, 16, v5
	v_fma_f16 v10, v66, v10, -v16
	v_mul_f16_sdwa v16, v65, v12 dst_sel:DWORD dst_unused:UNUSED_PAD src0_sel:WORD_1 src1_sel:DWORD
	v_fma_f16 v12, v65, v12, -v13
	s_waitcnt vmcnt(1)
	v_mul_f16_sdwa v13, v64, v22 dst_sel:DWORD dst_unused:UNUSED_PAD src0_sel:WORD_1 src1_sel:DWORD
	v_mul_f16_sdwa v18, v64, v15 dst_sel:DWORD dst_unused:UNUSED_PAD src0_sel:WORD_1 src1_sel:DWORD
	v_fmac_f16_e32 v8, v67, v19
	v_fmac_f16_e32 v11, v66, v20
	s_waitcnt vmcnt(0)
	v_mul_f16_sdwa v19, v63, v5 dst_sel:DWORD dst_unused:UNUSED_PAD src0_sel:WORD_1 src1_sel:DWORD
	v_mul_f16_sdwa v20, v63, v17 dst_sel:DWORD dst_unused:UNUSED_PAD src0_sel:WORD_1 src1_sel:DWORD
	v_fmac_f16_e32 v16, v65, v21
	v_fma_f16 v13, v64, v15, -v13
	v_fmac_f16_e32 v18, v64, v22
	v_fma_f16 v15, v63, v17, -v19
	v_fmac_f16_e32 v20, v63, v5
	v_pack_b32_f16 v5, v8, v14
	v_pack_b32_f16 v8, v11, v10
	;; [unrolled: 1-line block ×5, first 2 shown]
	v_add_nc_u32_e32 v13, 0x1600, v62
	ds_write2_b32 v3, v7, v6 offset0:88 offset1:196
	ds_write_b32 v62, v10 offset:1728
	ds_write2_b32 v4, v5, v11 offset0:132 offset1:240
	ds_write2_b32 v13, v8, v12 offset0:68 offset1:176
	s_and_saveexec_b32 s2, vcc_lo
	s_cbranch_execz .LBB0_3
; %bb.2:
	v_add_co_u32 v0, s0, v0, s0
	v_add_co_ci_u32_e64 v1, s0, s1, v1, s0
	v_add_co_u32 v5, s0, v0, s14
	v_add_co_ci_u32_e64 v6, s0, s15, v1, s0
	v_add_co_u32 v7, s0, v5, s14
	v_add_co_ci_u32_e64 v8, s0, s15, v6, s0
	global_load_dword v0, v[0:1], off
	global_load_dword v1, v[43:44], off offset:112
	global_load_dword v5, v[5:6], off
	global_load_dword v6, v[7:8], off
	s_clause 0x1
	global_load_dword v7, v[39:40], off offset:368
	global_load_dword v8, v[41:42], off offset:624
	s_waitcnt vmcnt(5)
	v_lshrrev_b32_e32 v9, 16, v0
	s_waitcnt vmcnt(4)
	v_mul_f16_sdwa v10, v1, v0 dst_sel:DWORD dst_unused:UNUSED_PAD src0_sel:WORD_1 src1_sel:DWORD
	s_waitcnt vmcnt(3)
	v_lshrrev_b32_e32 v11, 16, v5
	s_waitcnt vmcnt(2)
	v_lshrrev_b32_e32 v12, 16, v6
	v_mul_f16_sdwa v13, v1, v9 dst_sel:DWORD dst_unused:UNUSED_PAD src0_sel:WORD_1 src1_sel:DWORD
	v_fma_f16 v9, v1, v9, -v10
	s_waitcnt vmcnt(1)
	v_mul_f16_sdwa v10, v7, v5 dst_sel:DWORD dst_unused:UNUSED_PAD src0_sel:WORD_1 src1_sel:DWORD
	v_mul_f16_sdwa v14, v7, v11 dst_sel:DWORD dst_unused:UNUSED_PAD src0_sel:WORD_1 src1_sel:DWORD
	s_waitcnt vmcnt(0)
	v_mul_f16_sdwa v15, v8, v12 dst_sel:DWORD dst_unused:UNUSED_PAD src0_sel:WORD_1 src1_sel:DWORD
	v_mul_f16_sdwa v16, v8, v6 dst_sel:DWORD dst_unused:UNUSED_PAD src0_sel:WORD_1 src1_sel:DWORD
	v_fmac_f16_e32 v13, v1, v0
	v_fma_f16 v0, v7, v11, -v10
	v_fmac_f16_e32 v14, v7, v5
	v_fmac_f16_e32 v15, v8, v6
	v_fma_f16 v1, v8, v12, -v16
	v_pack_b32_f16 v5, v13, v9
	v_add_nc_u32_e32 v6, 0x70, v62
	v_pack_b32_f16 v0, v14, v0
	v_pack_b32_f16 v1, v15, v1
	ds_write2st64_b32 v6, v5, v0 offset0:8 offset1:17
	ds_write_b32 v62, v1 offset:6768
.LBB0_3:
	s_or_b32 exec_lo, exec_lo, s2
	v_add_nc_u32_e32 v0, 0x600, v62
	v_add_nc_u32_e32 v1, 0x1000, v62
	v_add_nc_u32_e32 v5, 0x1400, v62
	s_waitcnt lgkmcnt(0)
	s_barrier
	buffer_gl0_inv
	ds_read2_b32 v[10:11], v62 offset1:108
	ds_read2_b32 v[12:13], v0 offset0:48 offset1:192
	ds_read2_b32 v[6:7], v1 offset0:128 offset1:236
	;; [unrolled: 1-line block ×6, first 2 shown]
	ds_read_b32 v16, v62 offset:6336
                                        ; implicit-def: $vgpr17
                                        ; implicit-def: $vgpr15
	s_and_saveexec_b32 s0, vcc_lo
	s_cbranch_execz .LBB0_5
; %bb.4:
	v_add_nc_u32_e32 v14, 0x70, v62
	ds_read2st64_b32 v[14:15], v14 offset0:8 offset1:17
	ds_read_b32 v17, v62 offset:6768
.LBB0_5:
	s_or_b32 exec_lo, exec_lo, s0
	s_waitcnt lgkmcnt(0)
	v_pk_add_f16 v24, v5, v16
	v_pk_add_f16 v25, v5, v16 neg_lo:[0,1] neg_hi:[0,1]
	v_pk_add_f16 v23, v15, v17
	v_pk_add_f16 v5, v12, v5
	;; [unrolled: 1-line block ×3, first 2 shown]
	v_pk_fma_f16 v12, v24, 0.5, v12 op_sel_hi:[1,0,1] neg_lo:[1,0,0] neg_hi:[1,0,0]
	v_pk_mul_f16 v26, 0x3aee, v25 op_sel_hi:[0,1]
	v_pk_fma_f16 v23, v23, 0.5, v14 op_sel_hi:[1,0,1] neg_lo:[1,0,0] neg_hi:[1,0,0]
	v_pk_add_f16 v14, v15, v14
	v_pk_add_f16 v24, v5, v16
	;; [unrolled: 1-line block ×3, first 2 shown]
	v_pk_add_f16 v27, v12, v26 op_sel:[0,1] op_sel_hi:[1,0]
	v_pk_add_f16 v30, v12, v26 op_sel:[0,1] op_sel_hi:[1,0] neg_lo:[0,1] neg_hi:[0,1]
	v_pk_add_f16 v12, v13, v6 neg_lo:[0,1] neg_hi:[0,1]
	v_pk_add_f16 v22, v11, v8
	v_pk_add_f16 v28, v17, v14
	v_mul_lo_u16 v13, v76, 3
	v_mov_b32_e32 v14, 2
	v_pk_fma_f16 v5, v5, 0.5, v10 op_sel_hi:[1,0,1] neg_lo:[1,0,0] neg_hi:[1,0,0]
	v_pk_mul_f16 v10, 0x3aee, v12 op_sel_hi:[0,1]
	v_pk_add_f16 v12, v8, v7
	v_pk_add_f16 v8, v8, v7 neg_lo:[0,1] neg_hi:[0,1]
	v_lshlrev_b32_sdwa v81, v14, v13 dst_sel:DWORD dst_unused:UNUSED_PAD src0_sel:DWORD src1_sel:WORD_0
	v_add_co_u32 v37, s0, 0x6c, v76
	v_pk_add_f16 v13, v5, v10 op_sel:[0,1] op_sel_hi:[1,0]
	v_pk_add_f16 v5, v5, v10 op_sel:[0,1] op_sel_hi:[1,0] neg_lo:[0,1] neg_hi:[0,1]
	v_pk_fma_f16 v10, v12, 0.5, v11 op_sel_hi:[1,0,1] neg_lo:[1,0,0] neg_hi:[1,0,0]
	v_pk_mul_f16 v8, 0x3aee, v8 op_sel_hi:[0,1]
	v_pk_add_f16 v31, v2, v9
	v_pk_add_f16 v6, v21, v6
	v_bfi_b32 v12, 0xffff, v13, v5
	v_bfi_b32 v5, 0xffff, v5, v13
	v_pk_add_f16 v13, v10, v8 op_sel:[0,1] op_sel_hi:[1,0]
	v_pk_add_f16 v8, v10, v8 op_sel:[0,1] op_sel_hi:[1,0] neg_lo:[0,1] neg_hi:[0,1]
	v_pk_add_f16 v10, v9, v0
	v_pk_add_f16 v9, v9, v0 neg_lo:[0,1] neg_hi:[0,1]
	v_mul_u32_u24_e32 v11, 3, v37
	v_add_co_u32 v36, null, 0xd8, v76
	s_barrier
	buffer_gl0_inv
	ds_write2_b32 v81, v6, v12 offset1:1
	v_pk_fma_f16 v2, v10, 0.5, v2 op_sel_hi:[1,0,1] neg_lo:[1,0,0] neg_hi:[1,0,0]
	v_pk_mul_f16 v6, 0x3aee, v9 op_sel_hi:[0,1]
	v_lshlrev_b32_e32 v80, 2, v11
	v_pk_add_f16 v7, v22, v7
	v_bfi_b32 v11, 0xffff, v13, v8
	s_load_dwordx2 s[2:3], s[4:5], 0x8
	v_pk_add_f16 v32, v3, v4
	ds_write_b32 v81, v5 offset:8
	ds_write2_b32 v80, v7, v11 offset1:1
	v_bfi_b32 v5, 0xffff, v8, v13
	v_mul_u32_u24_e32 v7, 3, v36
	v_pk_add_f16 v8, v2, v6 op_sel:[0,1] op_sel_hi:[1,0]
	v_pk_add_f16 v2, v2, v6 op_sel:[0,1] op_sel_hi:[1,0] neg_lo:[0,1] neg_hi:[0,1]
	v_pk_add_f16 v6, v4, v1
	v_pk_add_f16 v4, v4, v1 neg_lo:[0,1] neg_hi:[0,1]
	v_add_co_ci_u32_e64 v18, null, 0, 0, s0
	v_add_nc_u32_e32 v18, 0x144, v76
	v_add_nc_u32_e32 v19, 0x1b0, v76
	v_pk_add_f16 v29, v15, v17 neg_lo:[0,1] neg_hi:[0,1]
	v_lshlrev_b32_e32 v82, 2, v7
	v_pk_add_f16 v0, v31, v0
	v_bfi_b32 v7, 0xffff, v8, v2
	v_pk_fma_f16 v3, v6, 0.5, v3 op_sel_hi:[1,0,1] neg_lo:[1,0,0] neg_hi:[1,0,0]
	v_pk_mul_f16 v4, 0x3aee, v4 op_sel_hi:[0,1]
	v_bfi_b32 v2, 0xffff, v2, v8
	v_add_co_u32 v20, null, 0x21c, v76
	v_pk_fma_f16 v25, 0x3aee, v29, v23 op_sel:[0,0,1] op_sel_hi:[0,1,0]
	ds_write_b32 v80, v5 offset:8
	ds_write2_b32 v82, v0, v7 offset1:1
	v_mul_u32_u24_e32 v0, 3, v18
	v_pk_add_f16 v5, v3, v4 op_sel:[0,1] op_sel_hi:[1,0]
	v_pk_add_f16 v3, v3, v4 op_sel:[0,1] op_sel_hi:[1,0] neg_lo:[0,1] neg_hi:[0,1]
	ds_write_b32 v82, v2 offset:8
	v_mul_u32_u24_e32 v2, 3, v19
	v_lshrrev_b32_e32 v26, 16, v25
	v_pk_fma_f16 v29, 0x3aee, v29, v23 op_sel:[0,0,1] op_sel_hi:[0,1,0] neg_lo:[0,1,0] neg_hi:[0,1,0]
	v_lshlrev_b32_e32 v83, 2, v0
	v_pk_add_f16 v0, v32, v1
	v_bfi_b32 v1, 0xffff, v5, v3
	v_lshlrev_b32_e32 v85, 2, v2
	v_mul_u32_u24_e32 v84, 3, v20
	v_bfi_b32 v3, 0xffff, v3, v5
	v_bfi_b32 v2, 0xffff, v30, v27
	;; [unrolled: 1-line block ×3, first 2 shown]
	ds_write2_b32 v83, v0, v1 offset1:1
	ds_write_b32 v83, v3 offset:8
	ds_write_b32 v85, v24
	ds_write2_b32 v85, v4, v2 offset0:1 offset1:2
	s_and_saveexec_b32 s0, vcc_lo
	s_cbranch_execz .LBB0_7
; %bb.6:
	v_lshlrev_b32_e32 v0, 2, v84
	v_perm_b32 v1, v29, v26, 0x5040100
	v_alignbit_b32 v2, v25, v29, 16
	ds_write_b32 v0, v28
	ds_write2_b32 v0, v1, v2 offset0:1 offset1:2
.LBB0_7:
	s_or_b32 exec_lo, exec_lo, s0
	v_add_nc_u32_e32 v0, 0x400, v62
	v_add_nc_u32_e32 v1, 0x800, v62
	;; [unrolled: 1-line block ×5, first 2 shown]
	s_waitcnt lgkmcnt(0)
	s_barrier
	buffer_gl0_inv
	ds_read2_b32 v[8:9], v62 offset1:108
	ds_read2_b32 v[22:23], v0 offset0:32 offset1:140
	ds_read2_b32 v[20:21], v1 offset0:64 offset1:172
	;; [unrolled: 1-line block ×5, first 2 shown]
	v_lshrrev_b32_e32 v31, 16, v27
	v_cmp_gt_u16_e64 s0, 0x48, v76
	s_and_saveexec_b32 s1, s0
	s_cbranch_execz .LBB0_9
; %bb.8:
	ds_read_b32 v0, v62 offset:3168
	ds_read_b32 v1, v62 offset:6624
	;; [unrolled: 1-line block ×6, first 2 shown]
	s_waitcnt lgkmcnt(5)
	v_lshrrev_b32_e32 v31, 16, v0
	s_waitcnt lgkmcnt(4)
	v_lshrrev_b32_e32 v25, 16, v1
	s_waitcnt lgkmcnt(3)
	v_alignbit_b32 v29, v1, v26, 16
	s_waitcnt lgkmcnt(2)
	v_bfi_b32 v30, 0xffff, v0, v27
.LBB0_9:
	s_or_b32 exec_lo, exec_lo, s1
	v_and_b32_e32 v38, 0xff, v76
	v_and_b32_e32 v46, 0xff, v37
	v_mov_b32_e32 v56, 18
	s_waitcnt lgkmcnt(2)
	v_lshrrev_b32_e32 v51, 16, v18
	s_waitcnt lgkmcnt(1)
	v_lshrrev_b32_e32 v52, 16, v16
	v_mul_lo_u16 v0, 0xab, v38
	v_mul_lo_u16 v1, 0xab, v46
	s_waitcnt lgkmcnt(0)
	v_lshrrev_b32_e32 v53, 16, v10
	v_lshrrev_b32_e32 v55, 16, v23
	;; [unrolled: 1-line block ×3, first 2 shown]
	v_lshrrev_b16 v34, 9, v0
	v_lshrrev_b16 v35, 9, v1
	v_mov_b32_e32 v1, 0xaaab
	v_lshrrev_b32_e32 v58, 16, v19
	v_lshrrev_b32_e32 v60, 16, v11
	v_mul_lo_u16 v0, v34, 3
	v_mul_lo_u16 v2, v35, 3
	v_mul_u32_u24_sdwa v1, v36, v1 dst_sel:DWORD dst_unused:UNUSED_PAD src0_sel:WORD_0 src1_sel:DWORD
	v_mul_u32_u24_sdwa v34, v34, v56 dst_sel:DWORD dst_unused:UNUSED_PAD src0_sel:WORD_0 src1_sel:DWORD
	;; [unrolled: 1-line block ×3, first 2 shown]
	v_sub_nc_u16 v0, v76, v0
	v_sub_nc_u16 v2, v37, v2
	v_lshrrev_b32_e32 v48, 17, v1
	v_lshrrev_b32_e32 v59, 16, v17
	;; [unrolled: 1-line block ×3, first 2 shown]
	v_and_b32_e32 v47, 0xff, v0
	v_and_b32_e32 v49, 0xff, v2
	v_mul_lo_u16 v0, v48, 3
	v_lshrrev_b32_e32 v92, 16, v29
	v_lshrrev_b32_e32 v61, 16, v30
	v_mad_u64_u32 v[12:13], null, v47, 20, s[2:3]
	v_sub_nc_u16 v50, v36, v0
	v_mad_u64_u32 v[14:15], null, v49, 20, s[2:3]
	v_add_lshl_u32 v88, v34, v47, 2
	v_add_lshl_u32 v87, v35, v49, 2
	v_mul_lo_u16 v32, v50, 20
	global_load_dwordx4 v[4:7], v[12:13], off
	v_mad_u16 v86, v48, 18, v50
	v_lshrrev_b32_e32 v94, 16, v8
	global_load_dwordx4 v[0:3], v[14:15], off
	v_and_b32_e32 v32, 0xffff, v32
	v_lshrrev_b32_e32 v56, 16, v9
	v_lshrrev_b32_e32 v95, 16, v24
	v_add_co_u32 v32, s1, s2, v32
	v_add_co_ci_u32_e64 v33, null, s3, 0, s1
	s_clause 0x3
	global_load_dword v93, v[12:13], off offset:16
	global_load_dword v90, v[14:15], off offset:16
	global_load_dwordx4 v[12:15], v[32:33], off
	global_load_dword v91, v[32:33], off offset:16
	v_lshrrev_b32_e32 v32, 16, v22
	v_lshrrev_b32_e32 v33, 16, v20
	s_waitcnt vmcnt(0)
	s_barrier
	buffer_gl0_inv
	v_mul_f16_sdwa v34, v32, v4 dst_sel:DWORD dst_unused:UNUSED_PAD src0_sel:DWORD src1_sel:WORD_1
	v_mul_f16_sdwa v35, v22, v4 dst_sel:DWORD dst_unused:UNUSED_PAD src0_sel:DWORD src1_sel:WORD_1
	;; [unrolled: 1-line block ×27, first 2 shown]
	v_fma_f16 v22, v22, v4, -v34
	v_fma_f16 v23, v23, v0, -v50
	;; [unrolled: 1-line block ×7, first 2 shown]
	v_fmac_f16_e32 v35, v32, v4
	v_fmac_f16_e32 v48, v33, v5
	;; [unrolled: 1-line block ×3, first 2 shown]
	v_fma_f16 v10, v10, v93, -v106
	v_fmac_f16_e32 v104, v52, v7
	v_fmac_f16_e32 v108, v53, v93
	;; [unrolled: 1-line block ×6, first 2 shown]
	v_mul_f16_sdwa v110, v61, v12 dst_sel:DWORD dst_unused:UNUSED_PAD src0_sel:DWORD src1_sel:WORD_1
	v_mul_f16_sdwa v112, v31, v13 dst_sel:DWORD dst_unused:UNUSED_PAD src0_sel:DWORD src1_sel:WORD_1
	v_fma_f16 v11, v11, v90, -v107
	v_fmac_f16_e32 v105, v59, v3
	v_mul_f16_sdwa v116, v29, v15 dst_sel:DWORD dst_unused:UNUSED_PAD src0_sel:DWORD src1_sel:WORD_1
	v_fma_f16 v17, v17, v3, -v102
	v_fmac_f16_e32 v111, v61, v12
	v_fmac_f16_e32 v113, v31, v13
	v_fma_f16 v28, v28, v14, -v114
	v_fmac_f16_e32 v115, v89, v14
	v_fmac_f16_e32 v117, v29, v15
	v_fma_f16 v29, v92, v91, -v118
	v_fmac_f16_e32 v119, v25, v91
	v_add_f16_e32 v25, v8, v20
	v_add_f16_e32 v31, v20, v16
	;; [unrolled: 1-line block ×4, first 2 shown]
	v_sub_f16_e32 v34, v48, v104
	v_add_f16_e32 v47, v22, v18
	v_add_f16_e32 v48, v18, v10
	;; [unrolled: 1-line block ×9, first 2 shown]
	v_fma_f16 v27, v27, v12, -v110
	v_fma_f16 v30, v30, v13, -v112
	v_add_f16_e32 v57, v101, v105
	v_add_f16_e32 v60, v19, v11
	v_fma_f16 v26, v26, v15, -v116
	v_sub_f16_e32 v20, v20, v16
	v_sub_f16_e32 v18, v18, v10
	;; [unrolled: 1-line block ×3, first 2 shown]
	v_add_f16_e32 v53, v21, v17
	v_sub_f16_e32 v21, v21, v17
	v_sub_f16_e32 v19, v19, v11
	;; [unrolled: 1-line block ×3, first 2 shown]
	v_add_f16_e32 v100, v113, v117
	v_add_f16_e32 v103, v28, v29
	;; [unrolled: 1-line block ×5, first 2 shown]
	v_fmac_f16_e32 v94, -0.5, v33
	v_add_f16_e32 v10, v47, v10
	v_fmac_f16_e32 v22, -0.5, v48
	v_add_f16_e32 v32, v49, v108
	;; [unrolled: 2-line block ×3, first 2 shown]
	v_add_f16_e32 v33, v55, v105
	v_add_f16_e32 v11, v59, v11
	;; [unrolled: 1-line block ×3, first 2 shown]
	v_fmac_f16_e32 v99, -0.5, v89
	v_fma_f16 v8, -0.5, v31, v8
	v_add_f16_e32 v96, v24, v30
	v_add_f16_e32 v102, v27, v28
	;; [unrolled: 1-line block ×4, first 2 shown]
	v_fmac_f16_e32 v56, -0.5, v57
	v_fmac_f16_e32 v23, -0.5, v60
	v_add_f16_e32 v97, v30, v26
	v_sub_f16_e32 v30, v30, v26
	v_sub_f16_e32 v28, v28, v29
	v_sub_f16_e32 v110, v115, v119
	v_fmac_f16_e32 v95, -0.5, v100
	v_fmac_f16_e32 v27, -0.5, v103
	;; [unrolled: 1-line block ×3, first 2 shown]
	v_fmamk_f16 v52, v34, 0x3aee, v8
	v_fmac_f16_e32 v8, 0xbaee, v34
	v_fmamk_f16 v34, v20, 0xbaee, v94
	v_fmac_f16_e32 v94, 0x3aee, v20
	;; [unrolled: 2-line block ×4, first 2 shown]
	v_add_f16_e32 v18, v16, v10
	v_sub_f16_e32 v10, v16, v10
	v_add_f16_e32 v16, v25, v32
	v_fmamk_f16 v55, v19, 0xbaee, v99
	v_fmac_f16_e32 v99, 0x3aee, v19
	v_add_f16_e32 v19, v17, v11
	v_sub_f16_e32 v11, v17, v11
	v_add_f16_e32 v17, v33, v47
	v_add_f16_e32 v26, v96, v26
	;; [unrolled: 1-line block ×3, first 2 shown]
	v_sub_f16_e32 v25, v25, v32
	v_fmac_f16_e32 v9, -0.5, v53
	v_add_f16_e32 v31, v98, v117
	v_add_f16_e32 v50, v106, v119
	v_fmamk_f16 v53, v21, 0xbaee, v56
	v_fmac_f16_e32 v56, 0x3aee, v21
	v_fmamk_f16 v21, v92, 0x3aee, v23
	v_fmac_f16_e32 v23, 0xbaee, v92
	v_sub_f16_e32 v33, v33, v47
	v_fmamk_f16 v59, v30, 0xbaee, v95
	v_fmac_f16_e32 v95, 0x3aee, v30
	v_fmamk_f16 v30, v110, 0x3aee, v27
	v_fmac_f16_e32 v27, 0xbaee, v110
	;; [unrolled: 2-line block ×3, first 2 shown]
	v_pack_b32_f16 v16, v18, v16
	v_mul_f16_e32 v18, 0x3aee, v51
	v_pack_b32_f16 v17, v19, v17
	v_mul_f16_e32 v19, 0xbaee, v20
	v_add_f16_e32 v48, v26, v29
	v_sub_f16_e32 v47, v26, v29
	v_pack_b32_f16 v10, v10, v25
	v_mul_f16_e32 v25, -0.5, v22
	v_mul_f16_e32 v26, -0.5, v35
	v_sub_f16_e32 v58, v101, v105
	v_add_f16_e32 v49, v31, v50
	v_sub_f16_e32 v50, v31, v50
	v_mul_f16_e32 v28, 0x3aee, v55
	v_mul_f16_e32 v31, 0xbaee, v21
	v_pack_b32_f16 v11, v11, v33
	v_mul_f16_e32 v29, -0.5, v23
	v_mul_f16_e32 v33, -0.5, v99
	v_sub_f16_e32 v101, v113, v117
	v_fma_f16 v24, -0.5, v97, v24
	v_mul_f16_e32 v60, 0x3aee, v57
	v_mul_f16_e32 v61, -0.5, v27
	v_mul_f16_e32 v89, 0xbaee, v30
	v_mul_f16_e32 v92, -0.5, v111
	v_fmac_f16_e32 v18, 0.5, v20
	v_fmac_f16_e32 v19, 0.5, v51
	v_fmac_f16_e32 v25, 0x3aee, v35
	v_fmac_f16_e32 v26, 0xbaee, v22
	v_fmamk_f16 v32, v58, 0x3aee, v9
	v_fmac_f16_e32 v28, 0.5, v21
	v_fmac_f16_e32 v31, 0.5, v55
	v_fmac_f16_e32 v9, 0xbaee, v58
	v_fmac_f16_e32 v29, 0x3aee, v99
	;; [unrolled: 1-line block ×3, first 2 shown]
	v_fmamk_f16 v58, v101, 0x3aee, v24
	v_fmac_f16_e32 v24, 0xbaee, v101
	v_fmac_f16_e32 v60, 0.5, v30
	v_fmac_f16_e32 v61, 0x3aee, v111
	v_fmac_f16_e32 v89, 0.5, v57
	v_fmac_f16_e32 v92, 0xbaee, v27
	v_add_f16_e32 v20, v52, v18
	v_add_f16_e32 v22, v34, v19
	v_add_f16_e32 v21, v8, v25
	v_add_f16_e32 v23, v94, v26
	v_sub_f16_e32 v18, v52, v18
	v_sub_f16_e32 v8, v8, v25
	v_sub_f16_e32 v19, v34, v19
	v_sub_f16_e32 v25, v94, v26
	v_add_f16_e32 v26, v32, v28
	v_add_f16_e32 v30, v53, v31
	v_add_f16_e32 v27, v9, v29
	v_add_f16_e32 v34, v56, v33
	v_sub_f16_e32 v28, v32, v28
	v_sub_f16_e32 v9, v9, v29
	v_sub_f16_e32 v29, v53, v31
	v_sub_f16_e32 v31, v56, v33
	;; [unrolled: 8-line block ×3, first 2 shown]
	v_pack_b32_f16 v20, v20, v22
	v_pack_b32_f16 v21, v21, v23
	;; [unrolled: 1-line block ×8, first 2 shown]
	ds_write2_b32 v88, v16, v20 offset1:3
	ds_write2_b32 v88, v21, v10 offset0:6 offset1:9
	ds_write2_b32 v88, v18, v8 offset0:12 offset1:15
	ds_write2_b32 v87, v17, v19 offset1:3
	ds_write2_b32 v87, v22, v11 offset0:6 offset1:9
	ds_write2_b32 v87, v23, v9 offset0:12 offset1:15
	s_and_saveexec_b32 s1, s0
	s_cbranch_execz .LBB0_11
; %bb.10:
	v_mov_b32_e32 v8, 2
	v_perm_b32 v9, v49, v48, 0x5040100
	v_perm_b32 v10, v57, v51, 0x5040100
	v_perm_b32 v11, v56, v52, 0x5040100
	v_perm_b32 v16, v50, v47, 0x5040100
	v_lshlrev_b32_sdwa v8, v8, v86 dst_sel:DWORD dst_unused:UNUSED_PAD src0_sel:DWORD src1_sel:WORD_0
	v_perm_b32 v17, v58, v53, 0x5040100
	v_perm_b32 v18, v59, v55, 0x5040100
	ds_write2_b32 v8, v9, v10 offset1:3
	ds_write2_b32 v8, v11, v16 offset0:6 offset1:9
	ds_write2_b32 v8, v17, v18 offset0:12 offset1:15
.LBB0_11:
	s_or_b32 exec_lo, exec_lo, s1
	v_add_nc_u32_e32 v8, 0x400, v62
	v_add_nc_u32_e32 v9, 0x800, v62
	;; [unrolled: 1-line block ×5, first 2 shown]
	s_waitcnt lgkmcnt(0)
	s_barrier
	buffer_gl0_inv
	ds_read2_b32 v[24:25], v62 offset1:108
	ds_read2_b32 v[34:35], v8 offset0:32 offset1:140
	ds_read2_b32 v[32:33], v9 offset0:64 offset1:172
	;; [unrolled: 1-line block ×5, first 2 shown]
	s_and_saveexec_b32 s1, s0
	s_cbranch_execz .LBB0_13
; %bb.12:
	ds_read_b32 v48, v62 offset:864
	ds_read_b32 v51, v62 offset:2016
	;; [unrolled: 1-line block ×6, first 2 shown]
	s_waitcnt lgkmcnt(5)
	v_lshrrev_b32_e32 v49, 16, v48
	s_waitcnt lgkmcnt(4)
	v_lshrrev_b32_e32 v57, 16, v51
	;; [unrolled: 2-line block ×6, first 2 shown]
.LBB0_13:
	s_or_b32 exec_lo, exec_lo, s1
	v_mul_lo_u16 v8, v38, 57
	v_mov_b32_e32 v11, 0xe38f
	v_mov_b32_e32 v95, 0x6c
	s_waitcnt lgkmcnt(2)
	v_lshrrev_b32_e32 v100, 16, v30
	s_waitcnt lgkmcnt(1)
	v_lshrrev_b32_e32 v101, 16, v28
	v_lshrrev_b16 v38, 10, v8
	v_mul_lo_u16 v8, v46, 57
	v_mul_u32_u24_sdwa v16, v36, v11 dst_sel:DWORD dst_unused:UNUSED_PAD src0_sel:WORD_0 src1_sel:DWORD
	s_waitcnt lgkmcnt(0)
	v_lshrrev_b32_e32 v102, 16, v26
	v_lshrrev_b32_e32 v104, 16, v35
	v_mul_lo_u16 v9, v38, 18
	v_lshrrev_b16 v46, 10, v8
	v_lshrrev_b32_e32 v92, 20, v16
	v_lshrrev_b32_e32 v105, 16, v33
	v_mul_u32_u24_sdwa v38, v38, v95 dst_sel:DWORD dst_unused:UNUSED_PAD src0_sel:WORD_0 src1_sel:DWORD
	v_sub_nc_u16 v8, v76, v9
	v_mul_lo_u16 v9, v46, 18
	v_mul_u32_u24_sdwa v46, v46, v95 dst_sel:DWORD dst_unused:UNUSED_PAD src0_sel:WORD_0 src1_sel:DWORD
	v_lshrrev_b32_e32 v106, 16, v31
	v_lshrrev_b32_e32 v107, 16, v29
	v_and_b32_e32 v60, 0xff, v8
	v_sub_nc_u16 v10, v37, v9
	v_lshrrev_b32_e32 v108, 16, v27
	v_lshrrev_b32_e32 v99, 16, v24
	;; [unrolled: 1-line block ×3, first 2 shown]
	v_mad_u64_u32 v[8:9], null, v60, 20, s[2:3]
	v_and_b32_e32 v61, 0xff, v10
	v_add_lshl_u32 v96, v38, v60, 2
	v_mad_u64_u32 v[10:11], null, v61, 20, s[2:3]
	global_load_dwordx4 v[20:23], v[8:9], off offset:60
	v_add_lshl_u32 v95, v46, v61, 2
	s_clause 0x1
	global_load_dword v97, v[8:9], off offset:76
	global_load_dwordx4 v[16:19], v[10:11], off offset:60
	v_mul_lo_u16 v8, v92, 18
	global_load_dword v94, v[10:11], off offset:76
	v_sub_nc_u16 v98, v36, v8
	v_mul_lo_u16 v8, v98, 20
	v_mad_u16 v92, 0x6c, v92, v98
	v_and_b32_e32 v8, 0xffff, v8
	v_add_co_u32 v36, s1, s2, v8
	v_add_co_ci_u32_e64 v37, null, s3, 0, s1
	s_clause 0x1
	global_load_dwordx4 v[8:11], v[36:37], off offset:60
	global_load_dword v89, v[36:37], off offset:76
	v_lshrrev_b32_e32 v36, 16, v34
	v_lshrrev_b32_e32 v37, 16, v32
	s_waitcnt vmcnt(0)
	s_barrier
	buffer_gl0_inv
	v_mul_f16_sdwa v38, v36, v20 dst_sel:DWORD dst_unused:UNUSED_PAD src0_sel:DWORD src1_sel:WORD_1
	v_mul_f16_sdwa v46, v34, v20 dst_sel:DWORD dst_unused:UNUSED_PAD src0_sel:DWORD src1_sel:WORD_1
	;; [unrolled: 1-line block ×20, first 2 shown]
	v_fma_f16 v124, v34, v20, -v38
	v_fmac_f16_e32 v46, v36, v20
	v_fma_f16 v32, v32, v21, -v60
	v_fmac_f16_e32 v61, v37, v21
	;; [unrolled: 2-line block ×8, first 2 shown]
	v_fma_f16 v38, v29, v19, -v120
	v_fma_f16 v98, v27, v94, -v122
	v_fmac_f16_e32 v123, v108, v94
	v_mul_f16_sdwa v35, v57, v8 dst_sel:DWORD dst_unused:UNUSED_PAD src0_sel:DWORD src1_sel:WORD_1
	v_mul_f16_sdwa v100, v56, v9 dst_sel:DWORD dst_unused:UNUSED_PAD src0_sel:DWORD src1_sel:WORD_1
	;; [unrolled: 1-line block ×9, first 2 shown]
	v_fmac_f16_e32 v121, v107, v19
	v_mul_f16_sdwa v26, v51, v8 dst_sel:DWORD dst_unused:UNUSED_PAD src0_sel:DWORD src1_sel:WORD_1
	v_add_f16_e32 v105, v24, v32
	v_add_f16_e32 v106, v32, v36
	v_sub_f16_e32 v107, v61, v111
	v_add_f16_e32 v108, v99, v61
	v_add_f16_e32 v61, v61, v111
	v_sub_f16_e32 v110, v32, v36
	;; [unrolled: 3-line block ×4, first 2 shown]
	v_add_f16_e32 v122, v25, v33
	v_add_f16_e32 v125, v33, v38
	;; [unrolled: 1-line block ×3, first 2 shown]
	v_sub_f16_e32 v128, v33, v38
	v_add_f16_e32 v129, v60, v31
	v_add_f16_e32 v130, v31, v98
	v_sub_f16_e32 v131, v119, v123
	v_add_f16_e32 v132, v115, v119
	v_add_f16_e32 v119, v119, v123
	v_sub_f16_e32 v133, v31, v98
	v_fma_f16 v31, v51, v8, -v35
	v_fma_f16 v34, v52, v9, -v100
	v_fmac_f16_e32 v29, v56, v9
	v_fma_f16 v35, v47, v10, -v101
	v_fmac_f16_e32 v30, v50, v10
	;; [unrolled: 2-line block ×4, first 2 shown]
	v_fmac_f16_e32 v26, v57, v8
	v_add_f16_e32 v36, v105, v36
	v_fma_f16 v47, -0.5, v106, v24
	v_add_f16_e32 v24, v108, v111
	v_fmac_f16_e32 v99, -0.5, v61
	v_add_f16_e32 v37, v112, v37
	v_fmac_f16_e32 v124, -0.5, v114
	;; [unrolled: 2-line block ×3, first 2 shown]
	v_add_f16_e32 v38, v122, v38
	v_add_f16_e32 v51, v127, v121
	;; [unrolled: 1-line block ×3, first 2 shown]
	v_fmac_f16_e32 v60, -0.5, v130
	v_add_f16_e32 v53, v132, v123
	v_fmac_f16_e32 v115, -0.5, v119
	v_add_f16_e32 v55, v34, v32
	v_add_f16_e32 v57, v29, v27
	;; [unrolled: 1-line block ×4, first 2 shown]
	v_sub_f16_e32 v126, v117, v121
	v_add_f16_e32 v117, v117, v121
	v_sub_f16_e32 v56, v29, v27
	v_sub_f16_e32 v58, v34, v32
	;; [unrolled: 1-line block ×4, first 2 shown]
	v_fmamk_f16 v101, v107, 0x3aee, v47
	v_fmac_f16_e32 v47, 0xbaee, v107
	v_fmamk_f16 v102, v110, 0xbaee, v99
	v_fmac_f16_e32 v99, 0x3aee, v110
	;; [unrolled: 2-line block ×4, first 2 shown]
	v_add_f16_e32 v106, v36, v37
	v_add_f16_e32 v107, v24, v50
	v_sub_f16_e32 v37, v36, v37
	v_sub_f16_e32 v50, v24, v50
	v_fmamk_f16 v110, v131, 0x3aee, v60
	v_fmamk_f16 v111, v133, 0xbaee, v115
	v_add_f16_e32 v112, v38, v52
	v_add_f16_e32 v113, v51, v53
	v_sub_f16_e32 v38, v38, v52
	v_sub_f16_e32 v51, v51, v53
	v_fma_f16 v24, -0.5, v55, v48
	v_fma_f16 v36, -0.5, v57, v49
	;; [unrolled: 1-line block ×4, first 2 shown]
	v_fmac_f16_e32 v60, 0xbaee, v131
	v_fmac_f16_e32 v115, 0x3aee, v133
	v_fmac_f16_e32 v25, -0.5, v125
	v_fmac_f16_e32 v103, -0.5, v117
	v_mul_f16_e32 v57, 0x3aee, v105
	v_mul_f16_e32 v59, -0.5, v124
	v_mul_f16_e32 v98, 0xbaee, v104
	v_mul_f16_e32 v114, -0.5, v46
	v_mul_f16_e32 v116, 0x3aee, v111
	v_mul_f16_e32 v118, 0xbaee, v110
	v_pack_b32_f16 v106, v106, v107
	v_pack_b32_f16 v107, v37, v50
	;; [unrolled: 1-line block ×4, first 2 shown]
	v_fmamk_f16 v37, v56, 0x3aee, v24
	v_fmac_f16_e32 v24, 0xbaee, v56
	v_fmamk_f16 v38, v58, 0xbaee, v36
	v_fmac_f16_e32 v36, 0x3aee, v58
	;; [unrolled: 2-line block ×4, first 2 shown]
	v_mul_f16_e32 v117, -0.5, v60
	v_mul_f16_e32 v119, -0.5, v115
	v_fmamk_f16 v108, v126, 0x3aee, v25
	v_fmamk_f16 v109, v128, 0xbaee, v103
	v_fmac_f16_e32 v57, 0.5, v104
	v_fmac_f16_e32 v59, 0x3aee, v46
	v_fmac_f16_e32 v98, 0.5, v105
	v_fmac_f16_e32 v114, 0xbaee, v124
	v_fmac_f16_e32 v116, 0.5, v110
	v_fmac_f16_e32 v118, 0.5, v111
	v_mul_f16_e32 v46, 0x3aee, v58
	v_mul_f16_e32 v50, -0.5, v53
	v_mul_f16_e32 v51, 0xbaee, v56
	v_mul_f16_e32 v52, -0.5, v55
	v_fmac_f16_e32 v25, 0xbaee, v126
	v_fmac_f16_e32 v103, 0x3aee, v128
	;; [unrolled: 1-line block ×4, first 2 shown]
	v_add_f16_e32 v60, v101, v57
	v_add_f16_e32 v61, v47, v59
	;; [unrolled: 1-line block ×4, first 2 shown]
	v_sub_f16_e32 v57, v101, v57
	v_sub_f16_e32 v47, v47, v59
	;; [unrolled: 1-line block ×4, first 2 shown]
	v_add_f16_e32 v99, v108, v116
	v_add_f16_e32 v102, v109, v118
	v_fmac_f16_e32 v46, 0.5, v56
	v_fmac_f16_e32 v50, 0x3aee, v55
	v_fmac_f16_e32 v51, 0.5, v58
	v_fmac_f16_e32 v52, 0xbaee, v53
	v_add_f16_e32 v101, v25, v117
	v_add_f16_e32 v105, v103, v119
	v_sub_f16_e32 v108, v108, v116
	v_sub_f16_e32 v25, v25, v117
	v_sub_f16_e32 v109, v109, v118
	v_sub_f16_e32 v103, v103, v119
	v_pack_b32_f16 v53, v60, v100
	v_pack_b32_f16 v56, v57, v59
	;; [unrolled: 1-line block ×4, first 2 shown]
	v_sub_f16_e32 v47, v37, v46
	v_sub_f16_e32 v98, v24, v50
	;; [unrolled: 1-line block ×4, first 2 shown]
	v_pack_b32_f16 v55, v61, v104
	v_pack_b32_f16 v59, v101, v105
	;; [unrolled: 1-line block ×4, first 2 shown]
	ds_write2_b32 v96, v106, v53 offset1:18
	ds_write2_b32 v96, v55, v107 offset0:36 offset1:54
	ds_write2_b32 v96, v56, v57 offset0:72 offset1:90
	ds_write2_b32 v95, v112, v58 offset1:18
	ds_write2_b32 v95, v59, v113 offset0:36 offset1:54
	ds_write2_b32 v95, v60, v25 offset0:72 offset1:90
	s_and_saveexec_b32 s1, s0
	s_cbranch_execz .LBB0_15
; %bb.14:
	v_add_f16_e32 v25, v49, v29
	v_add_f16_e32 v26, v26, v30
	;; [unrolled: 1-line block ×11, first 2 shown]
	v_sub_f16_e32 v31, v25, v26
	v_add_f16_e32 v25, v25, v26
	v_mov_b32_e32 v26, 2
	v_add_f16_e32 v32, v28, v29
	v_add_f16_e32 v27, v36, v52
	v_sub_f16_e32 v28, v28, v29
	v_pack_b32_f16 v29, v33, v30
	v_lshlrev_b32_sdwa v26, v26, v92 dst_sel:DWORD dst_unused:UNUSED_PAD src0_sel:DWORD src1_sel:WORD_0
	v_pack_b32_f16 v25, v32, v25
	v_pack_b32_f16 v24, v24, v27
	;; [unrolled: 1-line block ×3, first 2 shown]
	v_perm_b32 v28, v100, v47, 0x5040100
	v_perm_b32 v30, v99, v98, 0x5040100
	ds_write2_b32 v26, v25, v29 offset1:18
	ds_write2_b32 v26, v24, v27 offset0:36 offset1:54
	ds_write2_b32 v26, v28, v30 offset0:72 offset1:90
.LBB0_15:
	s_or_b32 exec_lo, exec_lo, s1
	v_mad_u64_u32 v[36:37], null, v76, 60, s[2:3]
	s_waitcnt lgkmcnt(0)
	s_barrier
	buffer_gl0_inv
	v_add_nc_u32_e32 v101, 0x200, v62
	v_add_nc_u32_e32 v55, 0x600, v62
	;; [unrolled: 1-line block ×3, first 2 shown]
	s_clause 0x3
	global_load_dwordx4 v[32:35], v[36:37], off offset:420
	global_load_dwordx4 v[28:31], v[36:37], off offset:436
	;; [unrolled: 1-line block ×3, first 2 shown]
	global_load_dwordx3 v[36:38], v[36:37], off offset:468
	v_add_nc_u32_e32 v102, 0xc00, v62
	v_add_nc_u32_e32 v56, 0x1000, v62
	;; [unrolled: 1-line block ×4, first 2 shown]
	ds_read2_b32 v[48:49], v62 offset1:108
	ds_read2_b32 v[50:51], v101 offset0:88 offset1:196
	ds_read2_b32 v[52:53], v55 offset0:48 offset1:156
	;; [unrolled: 1-line block ×7, first 2 shown]
	v_lshlrev_b32_e32 v61, 2, v76
	s_add_u32 s2, s12, 0x1b00
	s_addc_u32 s3, s13, 0
	s_waitcnt lgkmcnt(7)
	v_lshrrev_b32_e32 v112, 16, v49
	s_waitcnt lgkmcnt(6)
	v_lshrrev_b32_e32 v113, 16, v50
	v_lshrrev_b32_e32 v114, 16, v51
	s_waitcnt lgkmcnt(5)
	v_lshrrev_b32_e32 v115, 16, v52
	;; [unrolled: 3-line block ×7, first 2 shown]
	v_lshrrev_b32_e32 v126, 16, v111
	v_lshrrev_b32_e32 v46, 16, v48
	s_waitcnt vmcnt(3)
	v_mul_f16_sdwa v127, v112, v32 dst_sel:DWORD dst_unused:UNUSED_PAD src0_sel:DWORD src1_sel:WORD_1
	v_mul_f16_sdwa v128, v49, v32 dst_sel:DWORD dst_unused:UNUSED_PAD src0_sel:DWORD src1_sel:WORD_1
	v_mul_f16_sdwa v129, v113, v33 dst_sel:DWORD dst_unused:UNUSED_PAD src0_sel:DWORD src1_sel:WORD_1
	v_mul_f16_sdwa v130, v50, v33 dst_sel:DWORD dst_unused:UNUSED_PAD src0_sel:DWORD src1_sel:WORD_1
	v_mul_f16_sdwa v131, v114, v34 dst_sel:DWORD dst_unused:UNUSED_PAD src0_sel:DWORD src1_sel:WORD_1
	v_mul_f16_sdwa v132, v51, v34 dst_sel:DWORD dst_unused:UNUSED_PAD src0_sel:DWORD src1_sel:WORD_1
	v_mul_f16_sdwa v133, v115, v35 dst_sel:DWORD dst_unused:UNUSED_PAD src0_sel:DWORD src1_sel:WORD_1
	v_mul_f16_sdwa v134, v52, v35 dst_sel:DWORD dst_unused:UNUSED_PAD src0_sel:DWORD src1_sel:WORD_1
	s_waitcnt vmcnt(2)
	v_mul_f16_sdwa v135, v116, v28 dst_sel:DWORD dst_unused:UNUSED_PAD src0_sel:DWORD src1_sel:WORD_1
	v_mul_f16_sdwa v136, v53, v28 dst_sel:DWORD dst_unused:UNUSED_PAD src0_sel:DWORD src1_sel:WORD_1
	v_mul_f16_sdwa v137, v117, v29 dst_sel:DWORD dst_unused:UNUSED_PAD src0_sel:DWORD src1_sel:WORD_1
	v_mul_f16_sdwa v138, v59, v29 dst_sel:DWORD dst_unused:UNUSED_PAD src0_sel:DWORD src1_sel:WORD_1
	v_mul_f16_sdwa v139, v118, v30 dst_sel:DWORD dst_unused:UNUSED_PAD src0_sel:DWORD src1_sel:WORD_1
	v_mul_f16_sdwa v140, v60, v30 dst_sel:DWORD dst_unused:UNUSED_PAD src0_sel:DWORD src1_sel:WORD_1
	v_mul_f16_sdwa v141, v119, v31 dst_sel:DWORD dst_unused:UNUSED_PAD src0_sel:DWORD src1_sel:WORD_1
	v_mul_f16_sdwa v142, v104, v31 dst_sel:DWORD dst_unused:UNUSED_PAD src0_sel:DWORD src1_sel:WORD_1
	;; [unrolled: 9-line block ×3, first 2 shown]
	s_waitcnt vmcnt(0)
	v_mul_f16_sdwa v151, v124, v36 dst_sel:DWORD dst_unused:UNUSED_PAD src0_sel:DWORD src1_sel:WORD_1
	v_mul_f16_sdwa v152, v109, v36 dst_sel:DWORD dst_unused:UNUSED_PAD src0_sel:DWORD src1_sel:WORD_1
	;; [unrolled: 1-line block ×6, first 2 shown]
	v_fma_f16 v49, v49, v32, -v127
	v_fmac_f16_e32 v128, v112, v32
	v_fma_f16 v50, v50, v33, -v129
	v_fmac_f16_e32 v130, v113, v33
	v_fma_f16 v51, v51, v34, -v131
	v_fmac_f16_e32 v132, v114, v34
	v_fma_f16 v52, v52, v35, -v133
	v_fmac_f16_e32 v134, v115, v35
	v_fma_f16 v53, v53, v28, -v135
	v_fmac_f16_e32 v136, v116, v28
	v_fma_f16 v59, v59, v29, -v137
	v_fmac_f16_e32 v138, v117, v29
	v_fma_f16 v60, v60, v30, -v139
	v_fmac_f16_e32 v140, v118, v30
	v_fma_f16 v104, v104, v31, -v141
	v_fmac_f16_e32 v142, v119, v31
	v_fma_f16 v105, v105, v24, -v143
	v_fmac_f16_e32 v144, v120, v24
	v_fma_f16 v106, v106, v25, -v145
	v_fmac_f16_e32 v146, v121, v25
	v_fma_f16 v107, v107, v26, -v147
	v_fmac_f16_e32 v148, v122, v26
	v_fma_f16 v108, v108, v27, -v149
	v_fmac_f16_e32 v150, v123, v27
	v_fma_f16 v109, v109, v36, -v151
	v_fmac_f16_e32 v152, v124, v36
	v_fma_f16 v110, v110, v37, -v153
	v_fmac_f16_e32 v154, v125, v37
	v_fma_f16 v111, v111, v38, -v155
	v_fmac_f16_e32 v156, v126, v38
	v_sub_f16_e32 v104, v48, v104
	v_sub_f16_e32 v112, v46, v142
	;; [unrolled: 1-line block ×16, first 2 shown]
	v_fma_f16 v46, v46, 2.0, -v112
	v_fma_f16 v52, v52, 2.0, -v108
	;; [unrolled: 1-line block ×13, first 2 shown]
	v_sub_f16_e32 v113, v104, v113
	v_add_f16_e32 v108, v112, v108
	v_sub_f16_e32 v115, v106, v115
	v_add_f16_e32 v110, v114, v110
	;; [unrolled: 2-line block ×4, first 2 shown]
	v_fma_f16 v48, v48, 2.0, -v104
	v_fma_f16 v49, v49, 2.0, -v105
	;; [unrolled: 1-line block ×3, first 2 shown]
	v_sub_f16_e32 v120, v46, v120
	v_fma_f16 v127, v104, 2.0, -v113
	v_fma_f16 v112, v112, 2.0, -v108
	v_sub_f16_e32 v59, v50, v59
	v_sub_f16_e32 v104, v121, v122
	v_fma_f16 v106, v106, 2.0, -v115
	v_fma_f16 v114, v114, 2.0, -v110
	v_sub_f16_e32 v122, v123, v124
	v_fma_f16 v105, v105, 2.0, -v117
	v_fma_f16 v116, v116, 2.0, -v109
	;; [unrolled: 3-line block ×3, first 2 shown]
	v_fmamk_f16 v126, v115, 0x39a8, v113
	v_fmamk_f16 v128, v110, 0x39a8, v108
	v_sub_f16_e32 v52, v48, v52
	v_sub_f16_e32 v53, v49, v53
	;; [unrolled: 1-line block ×3, first 2 shown]
	v_fma_f16 v131, v46, 2.0, -v120
	v_fma_f16 v46, v50, 2.0, -v59
	;; [unrolled: 1-line block ×5, first 2 shown]
	v_fmamk_f16 v125, v106, 0xb9a8, v127
	v_fmamk_f16 v132, v114, 0xb9a8, v112
	v_fmac_f16_e32 v126, 0xb9a8, v110
	v_fmac_f16_e32 v128, 0x39a8, v115
	v_fmamk_f16 v110, v107, 0xb9a8, v105
	v_fmamk_f16 v115, v118, 0xb9a8, v116
	;; [unrolled: 1-line block ×4, first 2 shown]
	v_fma_f16 v48, v48, 2.0, -v52
	v_fma_f16 v49, v49, 2.0, -v53
	;; [unrolled: 1-line block ×3, first 2 shown]
	v_sub_f16_e32 v133, v52, v104
	v_add_f16_e32 v59, v120, v59
	v_sub_f16_e32 v124, v53, v124
	v_add_f16_e32 v60, v122, v60
	v_sub_f16_e32 v50, v131, v50
	v_fmac_f16_e32 v125, 0xb9a8, v114
	v_fmac_f16_e32 v132, 0x39a8, v106
	v_sub_f16_e32 v114, v121, v123
	v_fmac_f16_e32 v110, 0xb9a8, v118
	v_fmac_f16_e32 v115, 0x39a8, v107
	;; [unrolled: 1-line block ×4, first 2 shown]
	v_sub_f16_e32 v111, v48, v46
	v_fma_f16 v52, v52, 2.0, -v133
	v_fma_f16 v106, v120, 2.0, -v59
	v_sub_f16_e32 v51, v49, v51
	v_fma_f16 v53, v53, 2.0, -v124
	v_fma_f16 v107, v122, 2.0, -v60
	v_fmamk_f16 v118, v124, 0x39a8, v133
	v_fmamk_f16 v119, v60, 0x39a8, v59
	v_fma_f16 v120, v131, 2.0, -v50
	v_fma_f16 v122, v127, 2.0, -v125
	;; [unrolled: 1-line block ×12, first 2 shown]
	v_fmamk_f16 v123, v53, 0xb9a8, v52
	v_fmamk_f16 v127, v107, 0xb9a8, v106
	v_sub_f16_e32 v114, v111, v114
	v_add_f16_e32 v51, v50, v51
	v_fmac_f16_e32 v118, 0xb9a8, v60
	v_fmac_f16_e32 v119, 0x39a8, v124
	v_sub_f16_e32 v60, v120, v121
	v_fmamk_f16 v121, v105, 0xbb64, v122
	v_fmamk_f16 v124, v116, 0xbb64, v112
	;; [unrolled: 1-line block ×8, first 2 shown]
	v_sub_f16_e32 v49, v48, v49
	v_fmac_f16_e32 v123, 0xb9a8, v107
	v_fmac_f16_e32 v127, 0x39a8, v53
	v_fma_f16 v53, v111, 2.0, -v114
	v_fma_f16 v50, v50, 2.0, -v51
	;; [unrolled: 1-line block ×4, first 2 shown]
	v_fmac_f16_e32 v121, 0xb61f, v116
	v_fmac_f16_e32 v124, 0x361f, v105
	;; [unrolled: 1-line block ×8, first 2 shown]
	v_fma_f16 v48, v48, 2.0, -v49
	v_fma_f16 v115, v120, 2.0, -v60
	v_pack_b32_f16 v50, v53, v50
	v_pack_b32_f16 v53, v107, v59
	;; [unrolled: 1-line block ×3, first 2 shown]
	v_fma_f16 v60, v122, 2.0, -v121
	v_fma_f16 v107, v112, 2.0, -v124
	;; [unrolled: 1-line block ×10, first 2 shown]
	v_pack_b32_f16 v48, v48, v115
	v_pack_b32_f16 v60, v60, v107
	;; [unrolled: 1-line block ×13, first 2 shown]
	ds_write2_b32 v62, v48, v60 offset1:108
	ds_write2_b32 v101, v52, v105 offset0:88 offset1:196
	ds_write2_b32 v55, v50, v106 offset0:48 offset1:156
	;; [unrolled: 1-line block ×7, first 2 shown]
	s_waitcnt lgkmcnt(0)
	s_barrier
	buffer_gl0_inv
	global_load_dword v105, v61, s[2:3]
	v_add_co_u32 v50, s1, s2, v61
	v_add_co_ci_u32_e64 v51, null, s3, 0, s1
	v_add_nc_u32_e32 v129, 0x1200, v62
	v_add_co_u32 v48, s1, 0x1800, v50
	v_add_co_ci_u32_e64 v49, s1, 0, v51, s1
	s_clause 0x1
	global_load_dword v114, v61, s[2:3] offset:432
	global_load_dword v115, v[48:49], off offset:192
	v_add_co_u32 v52, s1, 0x800, v50
	v_add_co_ci_u32_e64 v53, s1, 0, v51, s1
	v_add_co_u32 v50, s1, 0x1000, v50
	v_add_co_ci_u32_e64 v51, s1, 0, v51, s1
	s_clause 0xb
	global_load_dword v116, v[52:53], off offset:256
	global_load_dword v54, v54, s[2:3]
	global_load_dword v117, v[52:53], off offset:688
	global_load_dword v118, v[50:51], off offset:944
	global_load_dword v119, v61, s[2:3] offset:864
	global_load_dword v120, v[52:53], off offset:1120
	global_load_dword v121, v[50:51], off offset:1376
	global_load_dword v122, v61, s[2:3] offset:1296
	;; [unrolled: 3-line block ×3, first 2 shown]
	global_load_dword v125, v[52:53], off offset:1984
	ds_read2_b32 v[59:60], v62 offset1:108
	ds_read_b32 v126, v62 offset:6336
	s_waitcnt lgkmcnt(1)
	v_lshrrev_b32_e32 v106, 16, v59
	v_lshrrev_b32_e32 v127, 16, v60
	s_waitcnt lgkmcnt(0)
	v_lshrrev_b32_e32 v128, 16, v126
	s_waitcnt vmcnt(14)
	v_mul_f16_sdwa v107, v106, v105 dst_sel:DWORD dst_unused:UNUSED_PAD src0_sel:DWORD src1_sel:WORD_1
	v_mul_f16_sdwa v108, v59, v105 dst_sel:DWORD dst_unused:UNUSED_PAD src0_sel:DWORD src1_sel:WORD_1
	v_fma_f16 v59, v59, v105, -v107
	v_fmac_f16_e32 v108, v106, v105
	v_add_nc_u32_e32 v105, 0xa00, v62
	v_pack_b32_f16 v59, v59, v108
	s_waitcnt vmcnt(13)
	v_mul_f16_sdwa v130, v60, v114 dst_sel:DWORD dst_unused:UNUSED_PAD src0_sel:DWORD src1_sel:WORD_1
	s_waitcnt vmcnt(12)
	v_mul_f16_sdwa v131, v128, v115 dst_sel:DWORD dst_unused:UNUSED_PAD src0_sel:DWORD src1_sel:WORD_1
	v_mul_f16_sdwa v132, v126, v115 dst_sel:DWORD dst_unused:UNUSED_PAD src0_sel:DWORD src1_sel:WORD_1
	ds_write_b32 v62, v59
	v_mul_f16_sdwa v59, v127, v114 dst_sel:DWORD dst_unused:UNUSED_PAD src0_sel:DWORD src1_sel:WORD_1
	ds_read2_b32 v[106:107], v55 offset0:48 offset1:192
	ds_read2_b32 v[108:109], v56 offset0:128 offset1:236
	;; [unrolled: 1-line block ×4, first 2 shown]
	v_fma_f16 v133, v60, v114, -v59
	ds_read2_b32 v[59:60], v103 offset0:88 offset1:196
	v_fmac_f16_e32 v130, v127, v114
	v_fma_f16 v126, v126, v115, -v131
	v_fmac_f16_e32 v132, v128, v115
	ds_read2_b32 v[114:115], v102 offset0:132 offset1:240
	v_add_nc_u32_e32 v127, 0x400, v62
	v_pack_b32_f16 v130, v133, v130
	v_add_nc_u32_e32 v128, 0xf00, v62
	v_pack_b32_f16 v126, v126, v132
	s_waitcnt lgkmcnt(5)
	v_lshrrev_b32_e32 v131, 16, v107
	s_waitcnt vmcnt(11)
	v_mul_f16_sdwa v132, v107, v116 dst_sel:DWORD dst_unused:UNUSED_PAD src0_sel:DWORD src1_sel:WORD_1
	s_waitcnt lgkmcnt(4)
	v_lshrrev_b32_e32 v133, 16, v108
	s_waitcnt vmcnt(10)
	v_mul_f16_sdwa v134, v108, v54 dst_sel:DWORD dst_unused:UNUSED_PAD src0_sel:DWORD src1_sel:WORD_1
	;; [unrolled: 4-line block ×3, first 2 shown]
	v_lshrrev_b32_e32 v137, 16, v109
	s_waitcnt vmcnt(8)
	v_mul_f16_sdwa v138, v109, v118 dst_sel:DWORD dst_unused:UNUSED_PAD src0_sel:DWORD src1_sel:WORD_1
	s_waitcnt lgkmcnt(2)
	v_lshrrev_b32_e32 v139, 16, v112
	s_waitcnt vmcnt(7)
	v_mul_f16_sdwa v140, v112, v119 dst_sel:DWORD dst_unused:UNUSED_PAD src0_sel:DWORD src1_sel:WORD_1
	v_lshrrev_b32_e32 v141, 16, v111
	s_waitcnt vmcnt(6)
	v_mul_f16_sdwa v142, v111, v120 dst_sel:DWORD dst_unused:UNUSED_PAD src0_sel:DWORD src1_sel:WORD_1
	s_waitcnt lgkmcnt(1)
	v_lshrrev_b32_e32 v143, 16, v59
	s_waitcnt vmcnt(5)
	v_mul_f16_sdwa v144, v59, v121 dst_sel:DWORD dst_unused:UNUSED_PAD src0_sel:DWORD src1_sel:WORD_1
	;; [unrolled: 7-line block ×3, first 2 shown]
	v_lshrrev_b32_e32 v149, 16, v60
	s_waitcnt vmcnt(2)
	v_mul_f16_sdwa v150, v60, v124 dst_sel:DWORD dst_unused:UNUSED_PAD src0_sel:DWORD src1_sel:WORD_1
	v_lshrrev_b32_e32 v151, 16, v106
	s_waitcnt vmcnt(1)
	v_mul_f16_sdwa v152, v106, v61 dst_sel:DWORD dst_unused:UNUSED_PAD src0_sel:DWORD src1_sel:WORD_1
	v_lshrrev_b32_e32 v153, 16, v115
	v_mul_f16_sdwa v155, v131, v116 dst_sel:DWORD dst_unused:UNUSED_PAD src0_sel:DWORD src1_sel:WORD_1
	v_fmac_f16_e32 v132, v131, v116
	v_mul_f16_sdwa v131, v133, v54 dst_sel:DWORD dst_unused:UNUSED_PAD src0_sel:DWORD src1_sel:WORD_1
	v_fmac_f16_e32 v134, v133, v54
	;; [unrolled: 2-line block ×10, first 2 shown]
	v_mul_f16_sdwa v149, v151, v61 dst_sel:DWORD dst_unused:UNUSED_PAD src0_sel:DWORD src1_sel:WORD_1
	s_waitcnt vmcnt(0)
	v_mul_f16_sdwa v154, v115, v125 dst_sel:DWORD dst_unused:UNUSED_PAD src0_sel:DWORD src1_sel:WORD_1
	v_fmac_f16_e32 v152, v151, v61
	v_mul_f16_sdwa v151, v153, v125 dst_sel:DWORD dst_unused:UNUSED_PAD src0_sel:DWORD src1_sel:WORD_1
	v_fma_f16 v107, v107, v116, -v155
	v_fma_f16 v54, v108, v54, -v131
	;; [unrolled: 1-line block ×10, first 2 shown]
	v_fmac_f16_e32 v154, v153, v125
	v_fma_f16 v60, v60, v124, -v147
	v_fma_f16 v106, v115, v125, -v151
	v_pack_b32_f16 v107, v107, v132
	v_pack_b32_f16 v108, v108, v136
	;; [unrolled: 1-line block ×12, first 2 shown]
	ds_write2_b32 v57, v107, v108 offset0:64 offset1:172
	ds_write2_b32 v62, v130, v110 offset0:108 offset1:216
	;; [unrolled: 1-line block ×7, first 2 shown]
	s_and_saveexec_b32 s1, vcc_lo
	s_cbranch_execz .LBB0_17
; %bb.16:
	s_clause 0x2
	global_load_dword v52, v[52:53], off offset:112
	global_load_dword v50, v[50:51], off offset:368
	;; [unrolled: 1-line block ×3, first 2 shown]
	v_add_nc_u32_e32 v53, 0x70, v62
	ds_read2st64_b32 v[48:49], v53 offset0:8 offset1:17
	ds_read_b32 v54, v62 offset:6768
	s_waitcnt lgkmcnt(1)
	v_lshrrev_b32_e32 v57, 16, v48
	v_lshrrev_b32_e32 v58, 16, v49
	s_waitcnt lgkmcnt(0)
	v_lshrrev_b32_e32 v59, 16, v54
	s_waitcnt vmcnt(2)
	v_mul_f16_sdwa v60, v57, v52 dst_sel:DWORD dst_unused:UNUSED_PAD src0_sel:DWORD src1_sel:WORD_1
	v_mul_f16_sdwa v61, v48, v52 dst_sel:DWORD dst_unused:UNUSED_PAD src0_sel:DWORD src1_sel:WORD_1
	s_waitcnt vmcnt(1)
	v_mul_f16_sdwa v106, v58, v50 dst_sel:DWORD dst_unused:UNUSED_PAD src0_sel:DWORD src1_sel:WORD_1
	v_mul_f16_sdwa v107, v49, v50 dst_sel:DWORD dst_unused:UNUSED_PAD src0_sel:DWORD src1_sel:WORD_1
	;; [unrolled: 3-line block ×3, first 2 shown]
	v_fma_f16 v48, v48, v52, -v60
	v_fmac_f16_e32 v61, v57, v52
	v_fma_f16 v49, v49, v50, -v106
	v_fmac_f16_e32 v107, v58, v50
	;; [unrolled: 2-line block ×3, first 2 shown]
	v_pack_b32_f16 v48, v48, v61
	v_pack_b32_f16 v49, v49, v107
	;; [unrolled: 1-line block ×3, first 2 shown]
	ds_write2st64_b32 v53, v48, v49 offset0:8 offset1:17
	ds_write_b32 v62, v50 offset:6768
.LBB0_17:
	s_or_b32 exec_lo, exec_lo, s1
	s_waitcnt lgkmcnt(0)
	s_barrier
	buffer_gl0_inv
	ds_read2_b32 v[58:59], v62 offset1:108
	ds_read2_b32 v[60:61], v55 offset0:48 offset1:192
	ds_read2_b32 v[54:55], v56 offset0:128 offset1:236
	;; [unrolled: 1-line block ×6, first 2 shown]
	ds_read_b32 v101, v62 offset:6336
	s_and_saveexec_b32 s1, vcc_lo
	s_cbranch_execz .LBB0_19
; %bb.18:
	v_add_nc_u32_e32 v46, 0x70, v62
	ds_read2st64_b32 v[46:47], v46 offset0:8 offset1:17
	ds_read_b32 v98, v62 offset:6768
	s_waitcnt lgkmcnt(1)
	v_lshrrev_b32_e32 v104, 16, v46
	v_lshrrev_b32_e32 v100, 16, v47
	s_waitcnt lgkmcnt(0)
	v_lshrrev_b32_e32 v99, 16, v98
.LBB0_19:
	s_or_b32 exec_lo, exec_lo, s1
	s_waitcnt lgkmcnt(0)
	v_pk_add_f16 v102, v53, v101
	v_pk_add_f16 v103, v53, v101 neg_lo:[0,1] neg_hi:[0,1]
	v_pk_add_f16 v53, v60, v53
	v_pk_add_f16 v105, v58, v61
	v_add_f16_e32 v109, v47, v98
	v_pk_fma_f16 v110, v102, 0.5, v60 op_sel_hi:[1,0,1] neg_lo:[1,0,0] neg_hi:[1,0,0]
	v_pk_add_f16 v112, v61, v54
	v_pk_add_f16 v60, v53, v101
	v_add_f16_e32 v53, v100, v99
	v_pk_add_f16 v61, v61, v54 neg_lo:[0,1] neg_hi:[0,1]
	v_add_f16_e32 v102, v47, v46
	v_fmac_f16_e32 v46, -0.5, v109
	v_sub_f16_e32 v109, v100, v99
	v_add_f16_e32 v100, v100, v104
	v_fmac_f16_e32 v104, -0.5, v53
	v_sub_f16_e32 v47, v47, v98
	v_pk_fma_f16 v53, v112, 0.5, v58 op_sel_hi:[1,0,1] neg_lo:[1,0,0] neg_hi:[1,0,0]
	v_pk_mul_f16 v58, 0x3aee, v61 op_sel_hi:[0,1]
	v_pk_add_f16 v106, v59, v56
	v_add_f16_e32 v101, v98, v102
	v_fmamk_f16 v61, v47, 0x3aee, v104
	v_fmac_f16_e32 v104, 0xbaee, v47
	v_pk_add_f16 v47, v53, v58 op_sel:[0,1] op_sel_hi:[1,0] neg_lo:[0,1] neg_hi:[0,1]
	v_pk_add_f16 v53, v53, v58 op_sel:[0,1] op_sel_hi:[1,0]
	v_add_f16_e32 v98, v99, v100
	v_pk_add_f16 v54, v105, v54
	v_pk_add_f16 v58, v56, v55
	v_pk_add_f16 v56, v56, v55 neg_lo:[0,1] neg_hi:[0,1]
	v_bfi_b32 v99, 0xffff, v47, v53
	s_barrier
	buffer_gl0_inv
	v_pk_fma_f16 v58, v58, 0.5, v59 op_sel_hi:[1,0,1] neg_lo:[1,0,0] neg_hi:[1,0,0]
	v_pk_mul_f16 v56, 0x3aee, v56 op_sel_hi:[0,1]
	ds_write2_b32 v81, v54, v99 offset1:1
	v_bfi_b32 v47, 0xffff, v53, v47
	v_pk_add_f16 v53, v57, v48
	v_pk_add_f16 v54, v57, v48 neg_lo:[0,1] neg_hi:[0,1]
	v_pk_add_f16 v107, v50, v57
	v_pk_add_f16 v108, v51, v52
	v_pk_add_f16 v57, v58, v56 op_sel:[0,1] op_sel_hi:[1,0] neg_lo:[0,1] neg_hi:[0,1]
	v_pk_add_f16 v56, v58, v56 op_sel:[0,1] op_sel_hi:[1,0]
	ds_write_b32 v81, v47 offset:8
	v_pk_fma_f16 v47, v53, 0.5, v50 op_sel_hi:[1,0,1] neg_lo:[1,0,0] neg_hi:[1,0,0]
	v_pk_mul_f16 v50, 0x3aee, v54 op_sel_hi:[0,1]
	v_pk_add_f16 v53, v106, v55
	v_pk_add_f16 v55, v52, v49
	v_pk_add_f16 v52, v52, v49 neg_lo:[0,1] neg_hi:[0,1]
	v_bfi_b32 v54, 0xffff, v57, v56
	v_pk_add_f16 v58, v47, v50 op_sel:[0,1] op_sel_hi:[1,0] neg_lo:[0,1] neg_hi:[0,1]
	v_pk_add_f16 v47, v47, v50 op_sel:[0,1] op_sel_hi:[1,0]
	v_pk_fma_f16 v51, v55, 0.5, v51 op_sel_hi:[1,0,1] neg_lo:[1,0,0] neg_hi:[1,0,0]
	v_pk_mul_f16 v52, 0x3aee, v52 op_sel_hi:[0,1]
	v_bfi_b32 v50, 0xffff, v56, v57
	v_pk_mul_f16 v111, 0x3aee, v103 op_sel_hi:[0,1]
	v_pk_add_f16 v48, v107, v48
	v_bfi_b32 v55, 0xffff, v58, v47
	ds_write2_b32 v80, v53, v54 offset1:1
	ds_write_b32 v80, v50 offset:8
	v_pk_add_f16 v50, v51, v52 op_sel:[0,1] op_sel_hi:[1,0] neg_lo:[0,1] neg_hi:[0,1]
	v_pk_add_f16 v51, v51, v52 op_sel:[0,1] op_sel_hi:[1,0]
	v_pk_add_f16 v103, v110, v111 op_sel:[0,1] op_sel_hi:[1,0] neg_lo:[0,1] neg_hi:[0,1]
	v_pk_add_f16 v59, v110, v111 op_sel:[0,1] op_sel_hi:[1,0]
	v_fmamk_f16 v102, v109, 0xbaee, v46
	v_fmac_f16_e32 v46, 0x3aee, v109
	v_bfi_b32 v47, 0xffff, v47, v58
	ds_write2_b32 v82, v48, v55 offset1:1
	v_pk_add_f16 v48, v108, v49
	v_bfi_b32 v49, 0xffff, v50, v51
	v_bfi_b32 v50, 0xffff, v51, v50
	;; [unrolled: 1-line block ×4, first 2 shown]
	ds_write_b32 v82, v47 offset:8
	ds_write2_b32 v83, v48, v49 offset1:1
	ds_write_b32 v83, v50 offset:8
	ds_write_b32 v85, v60
	ds_write2_b32 v85, v52, v51 offset0:1 offset1:2
	s_and_saveexec_b32 s1, vcc_lo
	s_cbranch_execz .LBB0_21
; %bb.20:
	v_lshlrev_b32_e32 v47, 2, v84
	v_perm_b32 v48, v61, v102, 0x5040100
	v_perm_b32 v49, v98, v101, 0x5040100
	;; [unrolled: 1-line block ×3, first 2 shown]
	ds_write2_b32 v47, v49, v48 offset1:1
	ds_write_b32 v47, v50 offset:8
.LBB0_21:
	s_or_b32 exec_lo, exec_lo, s1
	v_add_nc_u32_e32 v49, 0x400, v62
	v_add_nc_u32_e32 v50, 0x800, v62
	;; [unrolled: 1-line block ×5, first 2 shown]
	s_waitcnt lgkmcnt(0)
	s_barrier
	buffer_gl0_inv
	ds_read2_b32 v[47:48], v62 offset1:108
	ds_read2_b32 v[57:58], v49 offset0:32 offset1:140
	ds_read2_b32 v[55:56], v50 offset0:64 offset1:172
	;; [unrolled: 1-line block ×5, first 2 shown]
	v_lshrrev_b32_e32 v80, 16, v103
	v_lshrrev_b32_e32 v81, 16, v59
	s_and_saveexec_b32 s1, s0
	s_cbranch_execz .LBB0_23
; %bb.22:
	ds_read_b32 v103, v62 offset:2016
	ds_read_b32 v59, v62 offset:3168
	ds_read_b32 v101, v62 offset:4320
	ds_read_b32 v102, v62 offset:5472
	ds_read_b32 v46, v62 offset:6624
	ds_read_b32 v60, v62 offset:864
	s_waitcnt lgkmcnt(5)
	v_lshrrev_b32_e32 v81, 16, v103
	s_waitcnt lgkmcnt(4)
	v_lshrrev_b32_e32 v80, 16, v59
	;; [unrolled: 2-line block ×5, first 2 shown]
.LBB0_23:
	s_or_b32 exec_lo, exec_lo, s1
	s_waitcnt lgkmcnt(4)
	v_lshrrev_b32_e32 v83, 16, v57
	s_waitcnt lgkmcnt(3)
	v_lshrrev_b32_e32 v84, 16, v55
	s_waitcnt lgkmcnt(2)
	v_lshrrev_b32_e32 v85, 16, v53
	v_mul_f16_sdwa v111, v4, v57 dst_sel:DWORD dst_unused:UNUSED_PAD src0_sel:WORD_1 src1_sel:DWORD
	s_waitcnt lgkmcnt(1)
	v_lshrrev_b32_e32 v99, 16, v51
	v_mul_f16_sdwa v109, v4, v83 dst_sel:DWORD dst_unused:UNUSED_PAD src0_sel:WORD_1 src1_sel:DWORD
	v_mul_f16_sdwa v113, v5, v84 dst_sel:DWORD dst_unused:UNUSED_PAD src0_sel:WORD_1 src1_sel:DWORD
	s_waitcnt lgkmcnt(0)
	v_lshrrev_b32_e32 v100, 16, v49
	v_lshrrev_b32_e32 v106, 16, v58
	v_lshrrev_b32_e32 v107, 16, v56
	v_fmac_f16_e32 v109, v4, v57
	v_mul_f16_sdwa v57, v5, v55 dst_sel:DWORD dst_unused:UNUSED_PAD src0_sel:WORD_1 src1_sel:DWORD
	v_fma_f16 v4, v4, v83, -v111
	v_mul_f16_sdwa v83, v6, v85 dst_sel:DWORD dst_unused:UNUSED_PAD src0_sel:WORD_1 src1_sel:DWORD
	v_fmac_f16_e32 v113, v5, v55
	v_mul_f16_sdwa v55, v6, v53 dst_sel:DWORD dst_unused:UNUSED_PAD src0_sel:WORD_1 src1_sel:DWORD
	v_fma_f16 v5, v5, v84, -v57
	v_mul_f16_sdwa v57, v7, v99 dst_sel:DWORD dst_unused:UNUSED_PAD src0_sel:WORD_1 src1_sel:DWORD
	;; [unrolled: 4-line block ×3, first 2 shown]
	v_fmac_f16_e32 v57, v7, v51
	v_lshrrev_b32_e32 v108, 16, v54
	v_fma_f16 v7, v7, v99, -v53
	v_mul_f16_sdwa v53, v0, v106 dst_sel:DWORD dst_unused:UNUSED_PAD src0_sel:WORD_1 src1_sel:DWORD
	v_lshrrev_b32_e32 v110, 16, v52
	v_mul_f16_sdwa v51, v93, v49 dst_sel:DWORD dst_unused:UNUSED_PAD src0_sel:WORD_1 src1_sel:DWORD
	v_fmac_f16_e32 v55, v93, v49
	v_mul_f16_sdwa v49, v0, v58 dst_sel:DWORD dst_unused:UNUSED_PAD src0_sel:WORD_1 src1_sel:DWORD
	v_mul_f16_sdwa v84, v1, v107 dst_sel:DWORD dst_unused:UNUSED_PAD src0_sel:WORD_1 src1_sel:DWORD
	v_fmac_f16_e32 v53, v0, v58
	v_mul_f16_sdwa v58, v1, v56 dst_sel:DWORD dst_unused:UNUSED_PAD src0_sel:WORD_1 src1_sel:DWORD
	v_lshrrev_b32_e32 v112, 16, v50
	v_fma_f16 v0, v0, v106, -v49
	v_mul_f16_sdwa v49, v2, v108 dst_sel:DWORD dst_unused:UNUSED_PAD src0_sel:WORD_1 src1_sel:DWORD
	v_fmac_f16_e32 v84, v1, v56
	v_mul_f16_sdwa v56, v2, v54 dst_sel:DWORD dst_unused:UNUSED_PAD src0_sel:WORD_1 src1_sel:DWORD
	v_fma_f16 v1, v1, v107, -v58
	v_mul_f16_sdwa v58, v3, v110 dst_sel:DWORD dst_unused:UNUSED_PAD src0_sel:WORD_1 src1_sel:DWORD
	v_fmac_f16_e32 v49, v2, v54
	v_mul_f16_sdwa v54, v3, v52 dst_sel:DWORD dst_unused:UNUSED_PAD src0_sel:WORD_1 src1_sel:DWORD
	;; [unrolled: 4-line block ×4, first 2 shown]
	v_fma_f16 v52, v90, v112, -v52
	v_mul_f16_sdwa v85, v13, v80 dst_sel:DWORD dst_unused:UNUSED_PAD src0_sel:WORD_1 src1_sel:DWORD
	v_mul_f16_sdwa v90, v13, v59 dst_sel:DWORD dst_unused:UNUSED_PAD src0_sel:WORD_1 src1_sel:DWORD
	v_fmac_f16_e32 v54, v12, v103
	v_fma_f16 v12, v12, v81, -v50
	v_mul_f16_sdwa v50, v14, v98 dst_sel:DWORD dst_unused:UNUSED_PAD src0_sel:WORD_1 src1_sel:DWORD
	v_fmac_f16_e32 v85, v13, v59
	v_mul_f16_sdwa v59, v14, v101 dst_sel:DWORD dst_unused:UNUSED_PAD src0_sel:WORD_1 src1_sel:DWORD
	v_fma_f16 v13, v13, v80, -v90
	v_mul_f16_sdwa v80, v15, v61 dst_sel:DWORD dst_unused:UNUSED_PAD src0_sel:WORD_1 src1_sel:DWORD
	v_mul_f16_sdwa v81, v15, v102 dst_sel:DWORD dst_unused:UNUSED_PAD src0_sel:WORD_1 src1_sel:DWORD
	v_fmac_f16_e32 v50, v14, v101
	v_fma_f16 v14, v14, v98, -v59
	v_mul_f16_sdwa v59, v91, v104 dst_sel:DWORD dst_unused:UNUSED_PAD src0_sel:WORD_1 src1_sel:DWORD
	v_fmac_f16_e32 v80, v15, v102
	v_mul_f16_sdwa v90, v91, v46 dst_sel:DWORD dst_unused:UNUSED_PAD src0_sel:WORD_1 src1_sel:DWORD
	v_fma_f16 v15, v15, v61, -v81
	v_add_f16_e32 v61, v113, v57
	v_lshrrev_b32_e32 v82, 16, v47
	v_fma_f16 v51, v93, v100, -v51
	v_fmac_f16_e32 v59, v91, v46
	v_add_f16_e32 v46, v47, v113
	v_fma_f16 v81, v91, v104, -v90
	v_add_f16_e32 v90, v5, v7
	v_fma_f16 v47, -0.5, v61, v47
	v_sub_f16_e32 v61, v5, v7
	v_add_f16_e32 v5, v82, v5
	v_add_f16_e32 v46, v46, v57
	v_fmac_f16_e32 v82, -0.5, v90
	v_sub_f16_e32 v57, v113, v57
	v_fmamk_f16 v90, v61, 0xbaee, v47
	v_fmac_f16_e32 v47, 0x3aee, v61
	v_add_f16_e32 v61, v6, v51
	v_add_f16_e32 v91, v83, v55
	;; [unrolled: 1-line block ×4, first 2 shown]
	v_fmamk_f16 v7, v57, 0x3aee, v82
	v_fmac_f16_e32 v4, -0.5, v61
	v_sub_f16_e32 v61, v83, v55
	v_add_f16_e32 v83, v109, v83
	v_fmac_f16_e32 v109, -0.5, v91
	v_sub_f16_e32 v6, v6, v51
	v_fmac_f16_e32 v82, 0xbaee, v57
	v_fmamk_f16 v57, v61, 0x3aee, v4
	v_fmac_f16_e32 v4, 0xbaee, v61
	v_add_f16_e32 v55, v83, v55
	v_fmamk_f16 v61, v6, 0xbaee, v109
	v_fmac_f16_e32 v109, 0x3aee, v6
	v_lshrrev_b32_e32 v105, 16, v48
	v_mul_f16_e32 v83, 0xbaee, v4
	v_add_f16_e32 v91, v46, v55
	v_sub_f16_e32 v101, v46, v55
	v_add_f16_e32 v46, v84, v58
	v_mul_f16_e32 v6, 0xbaee, v57
	v_fmac_f16_e32 v83, -0.5, v109
	v_add_f16_e32 v51, v93, v51
	v_mul_f16_e32 v57, 0.5, v57
	v_mul_f16_e32 v4, -0.5, v4
	v_fmac_f16_e32 v6, 0.5, v61
	v_add_f16_e32 v93, v47, v83
	v_sub_f16_e32 v83, v47, v83
	v_add_f16_e32 v47, v48, v84
	v_fmac_f16_e32 v48, -0.5, v46
	v_sub_f16_e32 v46, v1, v3
	v_fmac_f16_e32 v57, 0x3aee, v61
	v_add_f16_e32 v98, v5, v51
	v_sub_f16_e32 v5, v5, v51
	v_add_f16_e32 v51, v1, v3
	v_fmamk_f16 v55, v46, 0xbaee, v48
	v_fmac_f16_e32 v48, 0x3aee, v46
	v_add_f16_e32 v46, v2, v52
	v_add_f16_e32 v99, v7, v57
	v_sub_f16_e32 v7, v7, v57
	v_add_f16_e32 v47, v47, v58
	v_add_f16_e32 v1, v105, v1
	v_fmac_f16_e32 v105, -0.5, v51
	v_sub_f16_e32 v51, v84, v58
	v_add_f16_e32 v57, v49, v56
	v_add_f16_e32 v58, v0, v2
	v_fmac_f16_e32 v0, -0.5, v46
	v_sub_f16_e32 v46, v49, v56
	v_add_f16_e32 v1, v1, v3
	v_fmamk_f16 v3, v51, 0x3aee, v105
	v_add_f16_e32 v49, v53, v49
	v_fmac_f16_e32 v53, -0.5, v57
	v_sub_f16_e32 v2, v2, v52
	v_fmac_f16_e32 v105, 0xbaee, v51
	v_fmamk_f16 v51, v46, 0x3aee, v0
	v_fmac_f16_e32 v0, 0xbaee, v46
	v_add_f16_e32 v46, v49, v56
	v_fmamk_f16 v49, v2, 0xbaee, v53
	v_fmac_f16_e32 v53, 0x3aee, v2
	v_mul_f16_e32 v2, 0xbaee, v51
	v_fmac_f16_e32 v4, 0x3aee, v109
	v_mul_f16_e32 v56, 0xbaee, v0
	v_add_f16_e32 v52, v58, v52
	v_add_f16_e32 v58, v47, v46
	v_fmac_f16_e32 v2, 0.5, v49
	v_sub_f16_e32 v104, v47, v46
	v_add_f16_e32 v46, v80, v85
	v_add_f16_e32 v100, v82, v4
	v_sub_f16_e32 v4, v82, v4
	v_mul_f16_e32 v51, 0.5, v51
	v_fmac_f16_e32 v56, -0.5, v53
	v_add_f16_e32 v82, v55, v2
	v_sub_f16_e32 v2, v55, v2
	v_fma_f16 v55, -0.5, v46, v60
	v_sub_f16_e32 v46, v13, v15
	v_fmac_f16_e32 v51, 0x3aee, v49
	v_add_f16_e32 v84, v48, v56
	v_sub_f16_e32 v106, v48, v56
	v_add_f16_e32 v47, v85, v60
	v_lshrrev_b32_e32 v57, 16, v60
	v_add_f16_e32 v48, v15, v13
	v_fmamk_f16 v56, v46, 0xbaee, v55
	v_fmac_f16_e32 v55, 0x3aee, v46
	v_add_f16_e32 v46, v81, v14
	v_add_f16_e32 v102, v3, v51
	v_sub_f16_e32 v3, v3, v51
	v_add_f16_e32 v51, v80, v47
	v_add_f16_e32 v13, v13, v57
	v_fmac_f16_e32 v57, -0.5, v48
	v_sub_f16_e32 v47, v85, v80
	v_add_f16_e32 v48, v59, v50
	v_add_f16_e32 v49, v14, v12
	v_fmac_f16_e32 v12, -0.5, v46
	v_sub_f16_e32 v46, v50, v59
	v_add_f16_e32 v13, v15, v13
	v_fmamk_f16 v15, v47, 0x3aee, v57
	v_add_f16_e32 v50, v50, v54
	v_fmac_f16_e32 v54, -0.5, v48
	v_sub_f16_e32 v14, v14, v81
	v_fmac_f16_e32 v57, 0xbaee, v47
	v_fmamk_f16 v47, v46, 0x3aee, v12
	v_fmac_f16_e32 v12, 0xbaee, v46
	v_mul_f16_e32 v0, -0.5, v0
	v_fmamk_f16 v48, v14, 0xbaee, v54
	v_fmac_f16_e32 v54, 0x3aee, v14
	v_mul_f16_e32 v14, 0xbaee, v47
	v_add_f16_e32 v50, v59, v50
	v_mul_f16_e32 v59, 0xbaee, v12
	v_mul_f16_e32 v80, 0.5, v47
	v_mul_f16_e32 v12, -0.5, v12
	v_add_f16_e32 v61, v90, v6
	v_add_f16_e32 v60, v81, v49
	v_fmac_f16_e32 v14, 0.5, v48
	v_fmac_f16_e32 v0, 0x3aee, v53
	v_fmac_f16_e32 v59, -0.5, v54
	v_fmac_f16_e32 v80, 0x3aee, v48
	v_fmac_f16_e32 v12, 0x3aee, v54
	v_sub_f16_e32 v6, v90, v6
	v_add_f16_e32 v90, v1, v52
	v_add_f16_e32 v46, v51, v50
	;; [unrolled: 1-line block ×4, first 2 shown]
	v_sub_f16_e32 v51, v51, v50
	v_sub_f16_e32 v50, v56, v14
	;; [unrolled: 1-line block ×3, first 2 shown]
	v_pack_b32_f16 v13, v91, v98
	v_pack_b32_f16 v14, v61, v99
	v_add_f16_e32 v103, v105, v0
	v_sub_f16_e32 v1, v1, v52
	v_sub_f16_e32 v0, v105, v0
	v_add_f16_e32 v49, v55, v59
	v_add_f16_e32 v53, v15, v80
	;; [unrolled: 1-line block ×3, first 2 shown]
	v_sub_f16_e32 v54, v55, v59
	v_sub_f16_e32 v55, v15, v80
	;; [unrolled: 1-line block ×3, first 2 shown]
	v_pack_b32_f16 v12, v93, v100
	v_pack_b32_f16 v5, v101, v5
	;; [unrolled: 1-line block ×4, first 2 shown]
	s_barrier
	buffer_gl0_inv
	ds_write2_b32 v88, v13, v14 offset1:3
	v_pack_b32_f16 v7, v58, v90
	v_pack_b32_f16 v13, v82, v102
	;; [unrolled: 1-line block ×6, first 2 shown]
	ds_write2_b32 v88, v12, v5 offset0:6 offset1:9
	ds_write2_b32 v88, v6, v4 offset0:12 offset1:15
	ds_write2_b32 v87, v7, v13 offset1:3
	ds_write2_b32 v87, v14, v1 offset0:6 offset1:9
	ds_write2_b32 v87, v2, v0 offset0:12 offset1:15
	s_and_saveexec_b32 s1, s0
	s_cbranch_execz .LBB0_25
; %bb.24:
	v_mov_b32_e32 v0, 2
	v_perm_b32 v1, v47, v46, 0x5040100
	v_perm_b32 v2, v53, v48, 0x5040100
	;; [unrolled: 1-line block ×4, first 2 shown]
	v_lshlrev_b32_sdwa v0, v0, v86 dst_sel:DWORD dst_unused:UNUSED_PAD src0_sel:DWORD src1_sel:WORD_0
	v_perm_b32 v5, v55, v50, 0x5040100
	v_perm_b32 v6, v57, v54, 0x5040100
	ds_write2_b32 v0, v1, v2 offset1:3
	ds_write2_b32 v0, v3, v4 offset0:6 offset1:9
	ds_write2_b32 v0, v5, v6 offset0:12 offset1:15
.LBB0_25:
	s_or_b32 exec_lo, exec_lo, s1
	v_add_nc_u32_e32 v2, 0x400, v62
	v_add_nc_u32_e32 v3, 0x800, v62
	;; [unrolled: 1-line block ×5, first 2 shown]
	s_waitcnt lgkmcnt(0)
	s_barrier
	buffer_gl0_inv
	ds_read2_b32 v[0:1], v62 offset1:108
	ds_read2_b32 v[14:15], v2 offset0:32 offset1:140
	ds_read2_b32 v[12:13], v3 offset0:64 offset1:172
	ds_read2_b32 v[6:7], v4 offset0:96 offset1:204
	ds_read2_b32 v[4:5], v5 offset0:128 offset1:236
	ds_read2_b32 v[2:3], v58 offset0:32 offset1:140
	s_and_saveexec_b32 s1, s0
	s_cbranch_execz .LBB0_27
; %bb.26:
	ds_read_b32 v46, v62 offset:864
	ds_read_b32 v48, v62 offset:2016
	;; [unrolled: 1-line block ×6, first 2 shown]
	s_waitcnt lgkmcnt(5)
	v_lshrrev_b32_e32 v47, 16, v46
	s_waitcnt lgkmcnt(4)
	v_lshrrev_b32_e32 v53, 16, v48
	;; [unrolled: 2-line block ×6, first 2 shown]
.LBB0_27:
	s_or_b32 exec_lo, exec_lo, s1
	s_waitcnt lgkmcnt(4)
	v_lshrrev_b32_e32 v59, 16, v14
	s_waitcnt lgkmcnt(3)
	v_lshrrev_b32_e32 v60, 16, v12
	;; [unrolled: 2-line block ×3, first 2 shown]
	v_mul_f16_sdwa v88, v20, v14 dst_sel:DWORD dst_unused:UNUSED_PAD src0_sel:WORD_1 src1_sel:DWORD
	s_waitcnt lgkmcnt(1)
	v_lshrrev_b32_e32 v80, 16, v4
	v_mul_f16_sdwa v86, v20, v59 dst_sel:DWORD dst_unused:UNUSED_PAD src0_sel:WORD_1 src1_sel:DWORD
	v_mul_f16_sdwa v91, v21, v60 dst_sel:DWORD dst_unused:UNUSED_PAD src0_sel:WORD_1 src1_sel:DWORD
	s_waitcnt lgkmcnt(0)
	v_lshrrev_b32_e32 v81, 16, v2
	v_lshrrev_b32_e32 v83, 16, v15
	;; [unrolled: 1-line block ×3, first 2 shown]
	v_fmac_f16_e32 v86, v20, v14
	v_mul_f16_sdwa v14, v21, v12 dst_sel:DWORD dst_unused:UNUSED_PAD src0_sel:WORD_1 src1_sel:DWORD
	v_fma_f16 v20, v20, v59, -v88
	v_mul_f16_sdwa v59, v22, v61 dst_sel:DWORD dst_unused:UNUSED_PAD src0_sel:WORD_1 src1_sel:DWORD
	v_fmac_f16_e32 v91, v21, v12
	v_mul_f16_sdwa v12, v22, v6 dst_sel:DWORD dst_unused:UNUSED_PAD src0_sel:WORD_1 src1_sel:DWORD
	v_fma_f16 v14, v21, v60, -v14
	v_mul_f16_sdwa v21, v23, v80 dst_sel:DWORD dst_unused:UNUSED_PAD src0_sel:WORD_1 src1_sel:DWORD
	;; [unrolled: 4-line block ×3, first 2 shown]
	v_lshrrev_b32_e32 v85, 16, v7
	v_fmac_f16_e32 v21, v23, v4
	v_mul_f16_sdwa v4, v97, v2 dst_sel:DWORD dst_unused:UNUSED_PAD src0_sel:WORD_1 src1_sel:DWORD
	v_fma_f16 v6, v23, v80, -v6
	v_mul_f16_sdwa v23, v16, v83 dst_sel:DWORD dst_unused:UNUSED_PAD src0_sel:WORD_1 src1_sel:DWORD
	v_fmac_f16_e32 v22, v97, v2
	v_mul_f16_sdwa v2, v16, v15 dst_sel:DWORD dst_unused:UNUSED_PAD src0_sel:WORD_1 src1_sel:DWORD
	v_lshrrev_b32_e32 v87, 16, v5
	v_mul_f16_sdwa v60, v17, v84 dst_sel:DWORD dst_unused:UNUSED_PAD src0_sel:WORD_1 src1_sel:DWORD
	v_fmac_f16_e32 v23, v16, v15
	v_mul_f16_sdwa v15, v17, v13 dst_sel:DWORD dst_unused:UNUSED_PAD src0_sel:WORD_1 src1_sel:DWORD
	v_fma_f16 v2, v16, v83, -v2
	v_mul_f16_sdwa v16, v18, v85 dst_sel:DWORD dst_unused:UNUSED_PAD src0_sel:WORD_1 src1_sel:DWORD
	v_lshrrev_b32_e32 v90, 16, v3
	v_fmac_f16_e32 v60, v17, v13
	v_mul_f16_sdwa v13, v18, v7 dst_sel:DWORD dst_unused:UNUSED_PAD src0_sel:WORD_1 src1_sel:DWORD
	v_fma_f16 v15, v17, v84, -v15
	v_mul_f16_sdwa v17, v19, v87 dst_sel:DWORD dst_unused:UNUSED_PAD src0_sel:WORD_1 src1_sel:DWORD
	v_fmac_f16_e32 v16, v18, v7
	v_mul_f16_sdwa v7, v19, v5 dst_sel:DWORD dst_unused:UNUSED_PAD src0_sel:WORD_1 src1_sel:DWORD
	v_fma_f16 v13, v18, v85, -v13
	v_mul_f16_sdwa v18, v94, v90 dst_sel:DWORD dst_unused:UNUSED_PAD src0_sel:WORD_1 src1_sel:DWORD
	v_fmac_f16_e32 v17, v19, v5
	v_lshrrev_b32_e32 v58, 16, v0
	v_fma_f16 v7, v19, v87, -v7
	v_add_f16_e32 v19, v91, v21
	v_fma_f16 v4, v97, v81, -v4
	v_mul_f16_sdwa v5, v94, v3 dst_sel:DWORD dst_unused:UNUSED_PAD src0_sel:WORD_1 src1_sel:DWORD
	v_fmac_f16_e32 v18, v94, v3
	v_add_f16_e32 v3, v0, v91
	v_add_f16_e32 v61, v14, v6
	v_fma_f16 v0, -0.5, v19, v0
	v_sub_f16_e32 v19, v14, v6
	v_add_f16_e32 v14, v58, v14
	v_add_f16_e32 v3, v3, v21
	v_fmac_f16_e32 v58, -0.5, v61
	v_sub_f16_e32 v21, v91, v21
	v_fmamk_f16 v61, v19, 0xbaee, v0
	v_fmac_f16_e32 v0, 0x3aee, v19
	v_add_f16_e32 v19, v12, v4
	v_add_f16_e32 v80, v59, v22
	v_add_f16_e32 v81, v20, v12
	v_add_f16_e32 v6, v14, v6
	v_fmamk_f16 v14, v21, 0x3aee, v58
	v_fmac_f16_e32 v20, -0.5, v19
	v_sub_f16_e32 v19, v59, v22
	v_add_f16_e32 v59, v86, v59
	v_fmac_f16_e32 v86, -0.5, v80
	v_sub_f16_e32 v12, v12, v4
	v_fmac_f16_e32 v58, 0xbaee, v21
	v_fmamk_f16 v21, v19, 0x3aee, v20
	v_fmac_f16_e32 v20, 0xbaee, v19
	v_add_f16_e32 v19, v59, v22
	v_fmamk_f16 v22, v12, 0xbaee, v86
	v_fmac_f16_e32 v86, 0x3aee, v12
	v_mul_f16_e32 v12, 0xbaee, v21
	v_add_f16_e32 v4, v81, v4
	v_mul_f16_e32 v21, 0.5, v21
	v_lshrrev_b32_e32 v82, 16, v1
	v_fma_f16 v5, v94, v90, -v5
	v_mul_f16_e32 v59, 0xbaee, v20
	v_add_f16_e32 v83, v6, v4
	v_fmac_f16_e32 v21, 0x3aee, v22
	v_sub_f16_e32 v4, v6, v4
	v_add_f16_e32 v6, v60, v17
	v_mul_f16_e32 v20, -0.5, v20
	v_add_f16_e32 v80, v3, v19
	v_add_f16_e32 v84, v14, v21
	v_sub_f16_e32 v3, v3, v19
	v_sub_f16_e32 v14, v14, v21
	v_add_f16_e32 v19, v1, v60
	v_add_f16_e32 v21, v15, v7
	v_fmac_f16_e32 v1, -0.5, v6
	v_sub_f16_e32 v6, v15, v7
	v_fmac_f16_e32 v59, -0.5, v86
	v_fmac_f16_e32 v20, 0x3aee, v86
	v_add_f16_e32 v15, v82, v15
	v_fmac_f16_e32 v82, -0.5, v21
	v_fmamk_f16 v21, v6, 0xbaee, v1
	v_fmac_f16_e32 v1, 0x3aee, v6
	v_add_f16_e32 v6, v13, v5
	v_add_f16_e32 v81, v0, v59
	;; [unrolled: 1-line block ×3, first 2 shown]
	v_sub_f16_e32 v0, v0, v59
	v_sub_f16_e32 v20, v58, v20
	v_add_f16_e32 v19, v19, v17
	v_sub_f16_e32 v17, v60, v17
	v_add_f16_e32 v58, v16, v18
	v_add_f16_e32 v59, v2, v13
	v_fmac_f16_e32 v2, -0.5, v6
	v_sub_f16_e32 v6, v16, v18
	v_add_f16_e32 v7, v15, v7
	v_fmamk_f16 v15, v17, 0x3aee, v82
	v_add_f16_e32 v16, v23, v16
	v_fmac_f16_e32 v23, -0.5, v58
	v_sub_f16_e32 v13, v13, v5
	v_fmac_f16_e32 v82, 0xbaee, v17
	v_fmamk_f16 v17, v6, 0x3aee, v2
	v_fmac_f16_e32 v2, 0xbaee, v6
	v_fmac_f16_e32 v12, 0.5, v22
	v_add_f16_e32 v6, v16, v18
	v_fmamk_f16 v16, v13, 0xbaee, v23
	v_fmac_f16_e32 v23, 0x3aee, v13
	v_mul_f16_e32 v13, 0xbaee, v17
	v_mul_f16_e32 v17, 0.5, v17
	v_mul_f16_e32 v18, 0xbaee, v2
	v_mul_f16_e32 v2, -0.5, v2
	v_add_f16_e32 v22, v61, v12
	v_add_f16_e32 v5, v59, v5
	v_fmac_f16_e32 v17, 0x3aee, v16
	v_fmac_f16_e32 v13, 0.5, v16
	v_fmac_f16_e32 v18, -0.5, v23
	v_fmac_f16_e32 v2, 0x3aee, v23
	v_add_f16_e32 v59, v7, v5
	v_add_f16_e32 v60, v15, v17
	v_sub_f16_e32 v5, v7, v5
	v_sub_f16_e32 v7, v15, v17
	v_pack_b32_f16 v15, v80, v83
	v_pack_b32_f16 v17, v22, v84
	v_sub_f16_e32 v12, v61, v12
	v_add_f16_e32 v58, v19, v6
	v_add_f16_e32 v16, v21, v13
	;; [unrolled: 1-line block ×4, first 2 shown]
	v_sub_f16_e32 v6, v19, v6
	v_sub_f16_e32 v13, v21, v13
	;; [unrolled: 1-line block ×4, first 2 shown]
	s_barrier
	buffer_gl0_inv
	ds_write2_b32 v96, v15, v17 offset1:18
	v_pack_b32_f16 v15, v81, v85
	v_pack_b32_f16 v3, v3, v4
	v_pack_b32_f16 v4, v12, v14
	v_pack_b32_f16 v0, v0, v20
	v_pack_b32_f16 v12, v58, v59
	v_pack_b32_f16 v14, v16, v60
	v_pack_b32_f16 v16, v23, v61
	v_pack_b32_f16 v5, v6, v5
	v_pack_b32_f16 v6, v13, v7
	v_pack_b32_f16 v1, v1, v2
	ds_write2_b32 v96, v15, v3 offset0:36 offset1:54
	ds_write2_b32 v96, v4, v0 offset0:72 offset1:90
	ds_write2_b32 v95, v12, v14 offset1:18
	ds_write2_b32 v95, v16, v5 offset0:36 offset1:54
	ds_write2_b32 v95, v6, v1 offset0:72 offset1:90
	s_and_saveexec_b32 s1, s0
	s_cbranch_execz .LBB0_29
; %bb.28:
	v_mul_f16_sdwa v3, v10, v51 dst_sel:DWORD dst_unused:UNUSED_PAD src0_sel:WORD_1 src1_sel:DWORD
	v_mul_f16_sdwa v4, v89, v54 dst_sel:DWORD dst_unused:UNUSED_PAD src0_sel:WORD_1 src1_sel:DWORD
	;; [unrolled: 1-line block ×7, first 2 shown]
	v_fma_f16 v3, v10, v56, -v3
	v_fma_f16 v4, v89, v57, -v4
	;; [unrolled: 1-line block ×4, first 2 shown]
	v_fmac_f16_e32 v2, v10, v51
	v_fmac_f16_e32 v5, v89, v54
	v_fma_f16 v6, v8, v53, -v6
	v_add_f16_e32 v10, v4, v3
	v_mul_f16_sdwa v13, v9, v52 dst_sel:DWORD dst_unused:UNUSED_PAD src0_sel:WORD_1 src1_sel:DWORD
	v_mul_f16_sdwa v14, v11, v55 dst_sel:DWORD dst_unused:UNUSED_PAD src0_sel:WORD_1 src1_sel:DWORD
	v_add_f16_e32 v7, v1, v0
	v_sub_f16_e32 v15, v2, v5
	v_fma_f16 v10, -0.5, v10, v6
	v_fmac_f16_e32 v13, v9, v49
	v_fmac_f16_e32 v14, v11, v50
	v_mul_f16_sdwa v12, v8, v53 dst_sel:DWORD dst_unused:UNUSED_PAD src0_sel:WORD_1 src1_sel:DWORD
	v_fma_f16 v7, -0.5, v7, v47
	v_fmamk_f16 v11, v15, 0xbaee, v10
	v_fmac_f16_e32 v10, 0x3aee, v15
	v_sub_f16_e32 v15, v13, v14
	v_fmac_f16_e32 v12, v8, v48
	v_add_f16_e32 v8, v5, v2
	v_sub_f16_e32 v9, v3, v4
	v_add_f16_e32 v21, v0, v47
	v_fmamk_f16 v18, v15, 0xbaee, v7
	v_fmac_f16_e32 v7, 0x3aee, v15
	v_add_f16_e32 v15, v14, v13
	v_fma_f16 v8, -0.5, v8, v12
	v_add_f16_e32 v3, v3, v6
	v_sub_f16_e32 v0, v0, v1
	v_add_f16_e32 v2, v2, v12
	v_fma_f16 v6, -0.5, v15, v46
	v_fmamk_f16 v16, v9, 0x3aee, v8
	v_fmac_f16_e32 v8, 0xbaee, v9
	v_mul_f16_e32 v9, 0.5, v10
	v_mul_f16_e32 v10, 0xbaee, v10
	v_add_f16_e32 v3, v4, v3
	v_fmamk_f16 v4, v0, 0x3aee, v6
	v_fmac_f16_e32 v6, 0xbaee, v0
	v_add_f16_e32 v0, v13, v46
	v_mul_f16_e32 v17, -0.5, v11
	v_mul_f16_e32 v11, 0xbaee, v11
	v_fmac_f16_e32 v9, 0x3aee, v8
	v_add_f16_e32 v1, v1, v21
	v_fmac_f16_e32 v10, 0.5, v8
	v_add_f16_e32 v0, v14, v0
	v_add_f16_e32 v2, v5, v2
	v_fmac_f16_e32 v17, 0x3aee, v16
	v_fmac_f16_e32 v11, -0.5, v16
	v_sub_f16_e32 v20, v7, v9
	v_sub_f16_e32 v8, v1, v3
	;; [unrolled: 1-line block ×3, first 2 shown]
	v_add_f16_e32 v7, v7, v9
	v_add_f16_e32 v1, v1, v3
	v_mov_b32_e32 v3, 2
	v_add_f16_e32 v9, v0, v2
	v_add_f16_e32 v6, v6, v10
	v_sub_f16_e32 v12, v4, v11
	v_add_f16_e32 v5, v18, v17
	v_add_f16_e32 v4, v4, v11
	v_sub_f16_e32 v0, v0, v2
	v_sub_f16_e32 v19, v18, v17
	v_lshlrev_b32_sdwa v2, v3, v92 dst_sel:DWORD dst_unused:UNUSED_PAD src0_sel:DWORD src1_sel:WORD_0
	v_pack_b32_f16 v1, v9, v1
	v_pack_b32_f16 v3, v6, v7
	v_pack_b32_f16 v4, v4, v5
	v_pack_b32_f16 v0, v0, v8
	v_pack_b32_f16 v5, v13, v20
	v_pack_b32_f16 v6, v12, v19
	ds_write2_b32 v2, v1, v3 offset1:18
	ds_write2_b32 v2, v4, v0 offset0:36 offset1:54
	ds_write2_b32 v2, v5, v6 offset0:72 offset1:90
.LBB0_29:
	s_or_b32 exec_lo, exec_lo, s1
	v_add_nc_u32_e32 v7, 0x200, v62
	s_waitcnt lgkmcnt(0)
	s_barrier
	buffer_gl0_inv
	ds_read2_b32 v[3:4], v62 offset1:108
	ds_read2_b32 v[8:9], v7 offset0:88 offset1:196
	v_add_nc_u32_e32 v0, 0x600, v62
	v_add_nc_u32_e32 v1, 0x800, v62
	;; [unrolled: 1-line block ×5, first 2 shown]
	ds_read2_b32 v[10:11], v0 offset0:48 offset1:156
	ds_read2_b32 v[12:13], v1 offset0:136 offset1:244
	;; [unrolled: 1-line block ×4, first 2 shown]
	v_add_nc_u32_e32 v22, 0x1600, v62
	ds_read2_b32 v[18:19], v6 offset0:16 offset1:124
	ds_read2_b32 v[20:21], v22 offset0:104 offset1:212
	s_mov_b32 s4, 0xbda12f68
	s_mov_b32 s5, 0x3f42f684
	s_mul_i32 s3, s9, 0xfffff8b0
	s_waitcnt lgkmcnt(7)
	v_lshrrev_b32_e32 v46, 16, v4
	s_waitcnt lgkmcnt(6)
	v_lshrrev_b32_e32 v47, 16, v8
	v_lshrrev_b32_e32 v48, 16, v9
	v_mul_f16_sdwa v80, v32, v4 dst_sel:DWORD dst_unused:UNUSED_PAD src0_sel:WORD_1 src1_sel:DWORD
	v_mul_f16_sdwa v81, v33, v8 dst_sel:DWORD dst_unused:UNUSED_PAD src0_sel:WORD_1 src1_sel:DWORD
	;; [unrolled: 1-line block ×3, first 2 shown]
	v_lshrrev_b32_e32 v23, 16, v3
	s_waitcnt lgkmcnt(5)
	v_lshrrev_b32_e32 v49, 16, v10
	v_lshrrev_b32_e32 v50, 16, v11
	v_mul_f16_sdwa v82, v34, v48 dst_sel:DWORD dst_unused:UNUSED_PAD src0_sel:WORD_1 src1_sel:DWORD
	v_fmac_f16_e32 v58, v32, v4
	v_mul_f16_sdwa v4, v33, v47 dst_sel:DWORD dst_unused:UNUSED_PAD src0_sel:WORD_1 src1_sel:DWORD
	v_fma_f16 v32, v32, v46, -v80
	v_mul_f16_sdwa v46, v34, v9 dst_sel:DWORD dst_unused:UNUSED_PAD src0_sel:WORD_1 src1_sel:DWORD
	s_waitcnt lgkmcnt(4)
	v_lshrrev_b32_e32 v51, 16, v12
	s_waitcnt lgkmcnt(3)
	v_lshrrev_b32_e32 v53, 16, v14
	v_fmac_f16_e32 v4, v33, v8
	v_fma_f16 v8, v33, v47, -v81
	v_fmac_f16_e32 v82, v34, v9
	v_mul_f16_sdwa v9, v35, v49 dst_sel:DWORD dst_unused:UNUSED_PAD src0_sel:WORD_1 src1_sel:DWORD
	v_fma_f16 v33, v34, v48, -v46
	v_mul_f16_sdwa v46, v28, v50 dst_sel:DWORD dst_unused:UNUSED_PAD src0_sel:WORD_1 src1_sel:DWORD
	v_mul_f16_sdwa v47, v28, v11 dst_sel:DWORD dst_unused:UNUSED_PAD src0_sel:WORD_1 src1_sel:DWORD
	v_lshrrev_b32_e32 v52, 16, v13
	v_lshrrev_b32_e32 v54, 16, v15
	v_mul_f16_sdwa v34, v35, v10 dst_sel:DWORD dst_unused:UNUSED_PAD src0_sel:WORD_1 src1_sel:DWORD
	v_fmac_f16_e32 v9, v35, v10
	v_mul_f16_sdwa v10, v29, v51 dst_sel:DWORD dst_unused:UNUSED_PAD src0_sel:WORD_1 src1_sel:DWORD
	v_fmac_f16_e32 v46, v28, v11
	v_fma_f16 v11, v28, v50, -v47
	v_mul_f16_sdwa v28, v29, v12 dst_sel:DWORD dst_unused:UNUSED_PAD src0_sel:WORD_1 src1_sel:DWORD
	v_mul_f16_sdwa v47, v31, v53 dst_sel:DWORD dst_unused:UNUSED_PAD src0_sel:WORD_1 src1_sel:DWORD
	s_waitcnt lgkmcnt(2)
	v_lshrrev_b32_e32 v55, 16, v16
	v_lshrrev_b32_e32 v56, 16, v17
	v_fma_f16 v34, v35, v49, -v34
	v_fmac_f16_e32 v10, v29, v12
	v_mul_f16_sdwa v12, v30, v52 dst_sel:DWORD dst_unused:UNUSED_PAD src0_sel:WORD_1 src1_sel:DWORD
	v_mul_f16_sdwa v35, v30, v13 dst_sel:DWORD dst_unused:UNUSED_PAD src0_sel:WORD_1 src1_sel:DWORD
	v_fma_f16 v28, v29, v51, -v28
	v_mul_f16_sdwa v29, v31, v14 dst_sel:DWORD dst_unused:UNUSED_PAD src0_sel:WORD_1 src1_sel:DWORD
	v_fmac_f16_e32 v47, v31, v14
	v_mul_f16_sdwa v14, v24, v54 dst_sel:DWORD dst_unused:UNUSED_PAD src0_sel:WORD_1 src1_sel:DWORD
	s_waitcnt lgkmcnt(1)
	v_lshrrev_b32_e32 v57, 16, v18
	v_fmac_f16_e32 v12, v30, v13
	v_fma_f16 v13, v30, v52, -v35
	v_fma_f16 v29, v31, v53, -v29
	v_mul_f16_sdwa v30, v24, v15 dst_sel:DWORD dst_unused:UNUSED_PAD src0_sel:WORD_1 src1_sel:DWORD
	v_mul_f16_sdwa v31, v25, v55 dst_sel:DWORD dst_unused:UNUSED_PAD src0_sel:WORD_1 src1_sel:DWORD
	;; [unrolled: 1-line block ×3, first 2 shown]
	v_fmac_f16_e32 v14, v24, v15
	v_mul_f16_sdwa v15, v26, v56 dst_sel:DWORD dst_unused:UNUSED_PAD src0_sel:WORD_1 src1_sel:DWORD
	v_lshrrev_b32_e32 v59, 16, v19
	v_fma_f16 v24, v24, v54, -v30
	v_fmac_f16_e32 v31, v25, v16
	v_fma_f16 v16, v25, v55, -v35
	v_mul_f16_sdwa v25, v26, v17 dst_sel:DWORD dst_unused:UNUSED_PAD src0_sel:WORD_1 src1_sel:DWORD
	v_fmac_f16_e32 v15, v26, v17
	v_mul_f16_sdwa v17, v27, v57 dst_sel:DWORD dst_unused:UNUSED_PAD src0_sel:WORD_1 src1_sel:DWORD
	v_mul_f16_sdwa v30, v27, v18 dst_sel:DWORD dst_unused:UNUSED_PAD src0_sel:WORD_1 src1_sel:DWORD
	s_waitcnt lgkmcnt(0)
	v_lshrrev_b32_e32 v60, 16, v20
	v_mul_f16_sdwa v35, v36, v59 dst_sel:DWORD dst_unused:UNUSED_PAD src0_sel:WORD_1 src1_sel:DWORD
	v_lshrrev_b32_e32 v61, 16, v21
	v_fmac_f16_e32 v17, v27, v18
	v_fma_f16 v18, v27, v57, -v30
	v_mul_f16_sdwa v27, v37, v20 dst_sel:DWORD dst_unused:UNUSED_PAD src0_sel:WORD_1 src1_sel:DWORD
	v_fma_f16 v25, v26, v56, -v25
	v_mul_f16_sdwa v26, v36, v19 dst_sel:DWORD dst_unused:UNUSED_PAD src0_sel:WORD_1 src1_sel:DWORD
	v_fmac_f16_e32 v35, v36, v19
	v_mul_f16_sdwa v19, v37, v60 dst_sel:DWORD dst_unused:UNUSED_PAD src0_sel:WORD_1 src1_sel:DWORD
	v_fma_f16 v27, v37, v60, -v27
	v_mul_f16_sdwa v30, v38, v61 dst_sel:DWORD dst_unused:UNUSED_PAD src0_sel:WORD_1 src1_sel:DWORD
	v_sub_f16_e32 v29, v23, v29
	v_sub_f16_e32 v18, v34, v18
	v_fmac_f16_e32 v19, v37, v20
	v_sub_f16_e32 v16, v8, v16
	v_sub_f16_e32 v27, v28, v27
	v_fma_f16 v26, v36, v59, -v26
	v_mul_f16_sdwa v36, v38, v21 dst_sel:DWORD dst_unused:UNUSED_PAD src0_sel:WORD_1 src1_sel:DWORD
	v_sub_f16_e32 v20, v3, v47
	v_fmac_f16_e32 v30, v38, v21
	v_sub_f16_e32 v17, v9, v17
	v_sub_f16_e32 v31, v4, v31
	v_fma_f16 v23, v23, 2.0, -v29
	v_fma_f16 v34, v34, 2.0, -v18
	v_sub_f16_e32 v19, v10, v19
	v_fma_f16 v8, v8, 2.0, -v16
	v_fma_f16 v28, v28, 2.0, -v27
	v_fma_f16 v21, v38, v61, -v36
	v_fma_f16 v9, v9, 2.0, -v17
	v_sub_f16_e32 v14, v58, v14
	v_fma_f16 v10, v10, 2.0, -v19
	v_sub_f16_e32 v35, v46, v35
	v_sub_f16_e32 v15, v82, v15
	;; [unrolled: 1-line block ×4, first 2 shown]
	v_add_f16_e32 v18, v20, v18
	v_sub_f16_e32 v17, v29, v17
	v_sub_f16_e32 v28, v8, v28
	v_add_f16_e32 v27, v31, v27
	v_sub_f16_e32 v19, v16, v19
	v_fma_f16 v3, v3, 2.0, -v20
	v_fma_f16 v4, v4, 2.0, -v31
	v_sub_f16_e32 v24, v32, v24
	v_fma_f16 v36, v58, 2.0, -v14
	v_sub_f16_e32 v26, v11, v26
	;; [unrolled: 2-line block ×3, first 2 shown]
	v_sub_f16_e32 v21, v13, v21
	v_fma_f16 v38, v82, 2.0, -v15
	v_fma_f16 v12, v12, 2.0, -v30
	;; [unrolled: 1-line block ×10, first 2 shown]
	v_sub_f16_e32 v10, v4, v10
	v_sub_f16_e32 v37, v36, v37
	v_add_f16_e32 v26, v14, v26
	v_sub_f16_e32 v35, v24, v35
	v_sub_f16_e32 v12, v38, v12
	v_add_f16_e32 v21, v15, v21
	v_sub_f16_e32 v30, v25, v30
	v_fmamk_f16 v46, v31, 0xb9a8, v20
	v_sub_f16_e32 v8, v23, v8
	v_fmamk_f16 v47, v16, 0xb9a8, v29
	v_fma_f16 v32, v32, 2.0, -v24
	v_fma_f16 v33, v33, 2.0, -v25
	;; [unrolled: 1-line block ×9, first 2 shown]
	v_fmac_f16_e32 v46, 0x39a8, v16
	v_fma_f16 v16, v23, 2.0, -v8
	v_fmac_f16_e32 v47, 0xb9a8, v31
	v_fmamk_f16 v23, v27, 0x39a8, v18
	v_sub_f16_e32 v10, v34, v10
	v_fmamk_f16 v31, v19, 0x39a8, v17
	v_sub_f16_e32 v9, v3, v9
	v_sub_f16_e32 v11, v32, v11
	v_fmac_f16_e32 v23, 0x39a8, v19
	v_fma_f16 v19, v29, 2.0, -v47
	v_fma_f16 v29, v34, 2.0, -v10
	v_fmac_f16_e32 v31, 0xb9a8, v27
	v_fmamk_f16 v27, v15, 0xb9a8, v14
	v_sub_f16_e32 v34, v36, v38
	v_fmamk_f16 v38, v25, 0xb9a8, v24
	v_sub_f16_e32 v13, v33, v13
	v_fma_f16 v20, v20, 2.0, -v46
	v_fmac_f16_e32 v27, 0x39a8, v25
	v_add_f16_e32 v28, v9, v28
	v_fmac_f16_e32 v38, 0xb9a8, v15
	v_fmamk_f16 v15, v21, 0x39a8, v26
	v_fma_f16 v33, v33, 2.0, -v13
	v_fma_f16 v25, v36, 2.0, -v34
	;; [unrolled: 1-line block ×3, first 2 shown]
	v_add_f16_e32 v13, v37, v13
	v_sub_f16_e32 v12, v11, v12
	v_fmamk_f16 v36, v30, 0x39a8, v35
	v_fmac_f16_e32 v15, 0x39a8, v30
	v_fma_f16 v24, v24, 2.0, -v38
	v_fma_f16 v3, v3, 2.0, -v9
	;; [unrolled: 1-line block ×6, first 2 shown]
	v_fmac_f16_e32 v36, 0xb9a8, v21
	v_fma_f16 v21, v26, 2.0, -v15
	v_fmamk_f16 v26, v14, 0xbb64, v20
	v_fmamk_f16 v37, v24, 0xbb64, v19
	v_fma_f16 v18, v18, 2.0, -v23
	v_fma_f16 v17, v17, 2.0, -v31
	;; [unrolled: 1-line block ×3, first 2 shown]
	v_fmac_f16_e32 v26, 0x361f, v24
	v_fmamk_f16 v24, v30, 0xb9a8, v9
	v_fmac_f16_e32 v37, 0xb61f, v14
	v_fmamk_f16 v14, v11, 0xb9a8, v29
	v_sub_f16_e32 v4, v3, v4
	v_sub_f16_e32 v33, v32, v33
	v_fmamk_f16 v48, v21, 0xb61f, v18
	v_fmac_f16_e32 v24, 0x39a8, v11
	v_fmamk_f16 v11, v35, 0xb61f, v17
	v_fmac_f16_e32 v14, 0xb9a8, v30
	v_fmamk_f16 v30, v27, 0x361f, v46
	v_fma_f16 v3, v3, 2.0, -v4
	v_fma_f16 v32, v32, 2.0, -v33
	v_fmac_f16_e32 v48, 0x3b64, v35
	v_fmac_f16_e32 v11, 0xbb64, v21
	v_fma_f16 v21, v29, 2.0, -v14
	v_add_f16_e32 v29, v4, v33
	v_sub_f16_e32 v33, v8, v34
	v_fmamk_f16 v34, v38, 0x361f, v47
	v_fmac_f16_e32 v30, 0x3b64, v38
	v_fmamk_f16 v35, v13, 0x39a8, v28
	v_fmamk_f16 v38, v12, 0x39a8, v10
	v_sub_f16_e32 v25, v3, v25
	v_sub_f16_e32 v32, v16, v32
	v_fmac_f16_e32 v34, 0xbb64, v27
	v_fmac_f16_e32 v35, 0x39a8, v12
	;; [unrolled: 1-line block ×3, first 2 shown]
	v_fmamk_f16 v12, v15, 0x3b64, v23
	v_fmamk_f16 v13, v36, 0x3b64, v31
	v_fma_f16 v3, v3, 2.0, -v25
	v_fma_f16 v16, v16, 2.0, -v32
	;; [unrolled: 1-line block ×6, first 2 shown]
	v_fmac_f16_e32 v12, 0x361f, v36
	v_fmac_f16_e32 v13, 0xb61f, v15
	v_fma_f16 v9, v9, 2.0, -v24
	v_fma_f16 v4, v4, 2.0, -v29
	;; [unrolled: 1-line block ×7, first 2 shown]
	v_pack_b32_f16 v3, v3, v16
	v_pack_b32_f16 v15, v20, v19
	;; [unrolled: 1-line block ×3, first 2 shown]
	v_fma_f16 v17, v23, 2.0, -v12
	v_fma_f16 v18, v31, 2.0, -v13
	v_pack_b32_f16 v9, v9, v21
	v_pack_b32_f16 v4, v4, v8
	;; [unrolled: 1-line block ×3, first 2 shown]
	ds_write2_b32 v62, v3, v15 offset1:108
	ds_write2_b32 v7, v9, v16 offset0:88 offset1:196
	ds_write2_b32 v0, v4, v8 offset0:48 offset1:156
	v_pack_b32_f16 v3, v28, v10
	v_pack_b32_f16 v4, v17, v18
	;; [unrolled: 1-line block ×10, first 2 shown]
	ds_write2_b32 v1, v3, v4 offset0:136 offset1:244
	ds_write2_b32 v5, v8, v9 offset0:96 offset1:204
	;; [unrolled: 1-line block ×5, first 2 shown]
	s_waitcnt lgkmcnt(0)
	s_barrier
	buffer_gl0_inv
	ds_read2_b32 v[3:4], v62 offset1:108
	s_waitcnt lgkmcnt(0)
	v_lshrrev_b32_e32 v1, 16, v3
	v_mul_f16_sdwa v8, v79, v1 dst_sel:DWORD dst_unused:UNUSED_PAD src0_sel:WORD_1 src1_sel:DWORD
	v_fmac_f16_e32 v8, v79, v3
	v_mul_f16_sdwa v3, v79, v3 dst_sel:DWORD dst_unused:UNUSED_PAD src0_sel:WORD_1 src1_sel:DWORD
	v_cvt_f32_f16_e32 v8, v8
	v_fma_f16 v1, v79, v1, -v3
	v_cvt_f64_f32_e32 v[8:9], v8
	v_cvt_f32_f16_e32 v1, v1
	v_cvt_f64_f32_e32 v[10:11], v1
	ds_read2_b32 v[0:1], v0 offset0:48 offset1:192
	v_mul_f64 v[8:9], v[8:9], s[4:5]
	s_waitcnt lgkmcnt(0)
	v_lshrrev_b32_e32 v16, 16, v1
	v_mul_f64 v[10:11], v[10:11], s[4:5]
	v_mul_f16_sdwa v17, v78, v16 dst_sel:DWORD dst_unused:UNUSED_PAD src0_sel:WORD_1 src1_sel:DWORD
	v_fmac_f16_e32 v17, v78, v1
	v_mul_f16_sdwa v1, v78, v1 dst_sel:DWORD dst_unused:UNUSED_PAD src0_sel:WORD_1 src1_sel:DWORD
	v_fma_f16 v1, v78, v16, -v1
	v_and_or_b32 v3, 0x1ff, v9, v8
	v_lshrrev_b32_e32 v8, 8, v9
	v_bfe_u32 v12, v9, 20, 11
	v_cvt_f32_f16_e32 v1, v1
	v_cmp_ne_u32_e64 s0, 0, v3
	v_and_or_b32 v10, 0x1ff, v11, v10
	v_lshrrev_b32_e32 v15, 8, v11
	v_bfe_u32 v18, v11, 20, 11
	v_add_nc_u32_e32 v19, 0xfffffc10, v12
	v_cndmask_b32_e64 v3, 0, 1, s0
	v_cmp_ne_u32_e64 s0, 0, v10
	v_lshrrev_b32_e32 v11, 16, v11
	v_cmp_eq_u32_e64 s2, 0x40f, v19
	v_and_or_b32 v8, 0xffe, v8, v3
	v_sub_nc_u32_e32 v3, 0x3f1, v12
	v_cndmask_b32_e64 v10, 0, 1, s0
	v_cvt_f32_f16_e32 v12, v17
	v_or_b32_e32 v13, 0x1000, v8
	v_med3_i32 v3, v3, 0, 13
	v_and_or_b32 v10, 0xffe, v15, v10
	v_sub_nc_u32_e32 v15, 0x3f1, v18
	v_lshl_or_b32 v21, v19, 12, v8
	v_lshrrev_b32_e32 v14, v3, v13
	v_or_b32_e32 v17, 0x1000, v10
	v_med3_i32 v20, v15, 0, 13
	v_lshlrev_b32_e32 v3, v3, v14
	v_lshrrev_b32_e32 v22, v20, v17
	v_cmp_ne_u32_e64 s0, v3, v13
	v_cvt_f64_f32_e32 v[12:13], v12
	v_lshlrev_b32_e32 v20, v20, v22
	v_cndmask_b32_e64 v3, 0, 1, s0
	v_cmp_gt_i32_e64 s0, 1, v19
	v_or_b32_e32 v3, v14, v3
	v_mad_u64_u32 v[14:15], null, s10, v45, 0
	v_cndmask_b32_e64 v21, v21, v3, s0
	v_cmp_ne_u32_e64 s0, v20, v17
	v_add_nc_u32_e32 v20, 0xfffffc10, v18
	v_mov_b32_e32 v3, v15
	v_and_b32_e32 v23, 7, v21
	v_cndmask_b32_e64 v15, 0, 1, s0
	v_lshrrev_b32_e32 v17, 2, v21
	v_lshl_or_b32 v18, v20, 12, v10
	v_mul_f64 v[12:13], v[12:13], s[4:5]
	v_cmp_lt_i32_e64 s0, 5, v23
	v_cmp_eq_u32_e64 s1, 3, v23
	v_or_b32_e32 v15, v22, v15
	s_or_b32 s0, s1, s0
	v_add_co_ci_u32_e64 v17, s0, 0, v17, s0
	v_cmp_gt_i32_e64 s0, 1, v20
	v_cndmask_b32_e64 v21, v18, v15, s0
	v_cmp_ne_u32_e64 s0, 0, v8
	v_cvt_f64_f32_e32 v[15:16], v1
	v_and_b32_e32 v23, 7, v21
	v_cndmask_b32_e64 v8, 0, 1, s0
	v_cmp_gt_i32_e64 s0, 31, v19
	v_cmp_eq_u32_e64 s1, 3, v23
	v_lshl_or_b32 v8, v8, 9, 0x7c00
	v_cndmask_b32_e64 v22, 0x7c00, v17, s0
	v_cmp_lt_i32_e64 s0, 5, v23
	v_mad_u64_u32 v[17:18], null, s11, v45, v[3:4]
	v_lshrrev_b32_e32 v3, 2, v21
	v_lshrrev_b32_e32 v21, 16, v9
	s_or_b32 s0, s1, s0
	v_cndmask_b32_e64 v1, v22, v8, s2
	v_and_or_b32 v8, 0x1ff, v13, v12
	v_add_co_ci_u32_e64 v9, s0, 0, v3, s0
	v_cmp_ne_u32_e64 s0, 0, v10
	ds_read2_b32 v[2:3], v2 offset0:128 offset1:236
	v_lshrrev_b32_e32 v18, 8, v13
	v_bfe_u32 v22, v13, 20, 11
	v_and_or_b32 v21, 0x8000, v21, v1
	v_cndmask_b32_e64 v10, 0, 1, s0
	v_cmp_ne_u32_e64 s0, 0, v8
	v_lshrrev_b32_e32 v13, 16, v13
	v_and_b32_e32 v21, 0xffff, v21
	v_lshl_or_b32 v10, v10, 9, 0x7c00
	v_cndmask_b32_e64 v12, 0, 1, s0
	v_cmp_gt_i32_e64 s0, 31, v20
	v_cndmask_b32_e64 v19, 0x7c00, v9, s0
	v_mul_f64 v[8:9], v[15:16], s[4:5]
	v_and_or_b32 v16, 0xffe, v18, v12
	v_sub_nc_u32_e32 v12, 0x3f1, v22
	v_cmp_eq_u32_e64 s0, 0x40f, v20
	v_mov_b32_e32 v15, v17
	s_waitcnt lgkmcnt(0)
	v_lshrrev_b32_e32 v17, 16, v2
	v_or_b32_e32 v20, 0x1000, v16
	v_med3_i32 v12, v12, 0, 13
	v_cndmask_b32_e64 v10, v19, v10, s0
	v_mad_u64_u32 v[18:19], null, s8, v76, 0
	v_lshlrev_b64 v[14:15], 2, v[14:15]
	v_lshrrev_b32_e32 v23, v12, v20
	v_and_or_b32 v24, 0x8000, v11, v10
	v_mov_b32_e32 v1, v19
	v_lshlrev_b32_e32 v12, v12, v23
	v_mul_f16_sdwa v19, v77, v17 dst_sel:DWORD dst_unused:UNUSED_PAD src0_sel:WORD_1 src1_sel:DWORD
	v_lshl_or_b32 v21, v24, 16, v21
	v_mad_u64_u32 v[10:11], null, s9, v76, v[1:2]
	v_and_or_b32 v1, 0x1ff, v9, v8
	v_cmp_ne_u32_e64 s0, v12, v20
	v_fmac_f16_e32 v19, v77, v2
	v_add_nc_u32_e32 v20, 0xfffffc10, v22
	v_bfe_u32 v22, v9, 20, 11
	v_mul_f16_sdwa v2, v77, v2 dst_sel:DWORD dst_unused:UNUSED_PAD src0_sel:WORD_1 src1_sel:DWORD
	v_cndmask_b32_e64 v8, 0, 1, s0
	v_cmp_ne_u32_e64 s0, 0, v1
	v_cvt_f32_f16_e32 v11, v19
	v_lshrrev_b32_e32 v19, 8, v9
	v_fma_f16 v2, v77, v17, -v2
	v_or_b32_e32 v8, v23, v8
	v_cndmask_b32_e64 v1, 0, 1, s0
	v_lshl_or_b32 v23, v20, 12, v16
	v_cmp_gt_i32_e64 s0, 1, v20
	v_cvt_f64_f32_e32 v[11:12], v11
	v_and_or_b32 v25, 0xffe, v19, v1
	v_sub_nc_u32_e32 v1, 0x3f1, v22
	v_cndmask_b32_e64 v8, v23, v8, s0
	v_mov_b32_e32 v19, v10
	v_add_co_u32 v26, s0, s6, v14
	v_or_b32_e32 v23, 0x1000, v25
	v_med3_i32 v1, v1, 0, 13
	v_and_b32_e32 v10, 7, v8
	v_add_co_ci_u32_e64 v27, s0, s7, v15, s0
	v_lshrrev_b32_e32 v8, 2, v8
	v_lshrrev_b32_e32 v24, v1, v23
	v_cmp_lt_i32_e64 s0, 5, v10
	v_cmp_eq_u32_e64 s1, 3, v10
	v_lshlrev_b32_e32 v1, v1, v24
	s_or_b32 s0, s1, s0
	v_mul_f64 v[10:11], v[11:12], s[4:5]
	v_add_co_ci_u32_e64 v8, s0, 0, v8, s0
	v_cmp_ne_u32_e64 s2, v1, v23
	v_add_nc_u32_e32 v12, 0xfffffc10, v22
	v_cmp_ne_u32_e64 s0, 0, v16
	v_cndmask_b32_e64 v1, 0, 1, s2
	v_lshl_or_b32 v14, v12, 12, v25
	v_cndmask_b32_e64 v15, 0, 1, s0
	v_cmp_gt_i32_e64 s0, 1, v12
	v_or_b32_e32 v1, v24, v1
	v_lshl_or_b32 v17, v15, 9, 0x7c00
	v_cndmask_b32_e64 v16, v14, v1, s0
	v_cmp_gt_i32_e64 s0, 31, v20
	v_cvt_f32_f16_e32 v1, v2
	v_lshlrev_b64 v[14:15], 2, v[18:19]
	v_and_or_b32 v10, 0x1ff, v11, v10
	v_and_b32_e32 v22, 7, v16
	v_cndmask_b32_e64 v8, 0x7c00, v8, s0
	v_cmp_eq_u32_e64 s0, 0x40f, v20
	v_cvt_f64_f32_e32 v[1:2], v1
	v_cmp_ne_u32_e64 s2, 0, v10
	v_cmp_eq_u32_e64 s1, 3, v22
	v_bfe_u32 v19, v11, 20, 11
	v_cndmask_b32_e64 v18, v8, v17, s0
	v_cmp_lt_i32_e64 s0, 5, v22
	v_lshrrev_b32_e32 v8, 2, v16
	v_cndmask_b32_e64 v10, 0, 1, s2
	v_lshrrev_b32_e32 v16, 8, v11
	v_sub_nc_u32_e32 v20, 0x3f1, v19
	s_or_b32 s0, s1, s0
	v_and_or_b32 v13, 0x8000, v13, v18
	v_add_co_ci_u32_e64 v8, s0, 0, v8, s0
	v_cmp_ne_u32_e64 s0, 0, v25
	v_and_or_b32 v10, 0xffe, v16, v10
	s_mul_i32 s1, s9, 0x240
	s_mul_hi_u32 s2, s8, 0x240
	v_and_b32_e32 v13, 0xffff, v13
	v_cndmask_b32_e64 v17, 0, 1, s0
	v_cmp_gt_i32_e64 s0, 31, v12
	s_add_i32 s1, s2, s1
	v_lshrrev_b32_e32 v11, 16, v11
	v_lshl_or_b32 v22, v17, 9, 0x7c00
	v_mul_f64 v[16:17], v[1:2], s[4:5]
	v_cndmask_b32_e64 v8, 0x7c00, v8, s0
	v_or_b32_e32 v1, 0x1000, v10
	v_med3_i32 v2, v20, 0, 13
	v_cmp_eq_u32_e64 s0, 0x40f, v12
	v_lshrrev_b32_e32 v20, 16, v9
	v_cndmask_b32_e64 v12, v8, v22, s0
	v_lshrrev_b32_e32 v22, v2, v1
	v_add_co_u32 v8, s0, v26, v14
	v_lshrrev_b32_e32 v14, 16, v4
	v_add_co_ci_u32_e64 v9, s0, v27, v15, s0
	v_lshlrev_b32_e32 v2, v2, v22
	v_and_or_b32 v12, 0x8000, v20, v12
	v_add_nc_u32_e32 v20, 0xfffffc10, v19
	v_cmp_ne_u32_e64 s0, v2, v1
	v_and_or_b32 v15, 0x1ff, v17, v16
	v_mul_f16_sdwa v2, v75, v14 dst_sel:DWORD dst_unused:UNUSED_PAD src0_sel:WORD_1 src1_sel:DWORD
	v_lshl_or_b32 v16, v20, 12, v10
	v_lshrrev_b32_e32 v18, 8, v17
	v_cndmask_b32_e64 v1, 0, 1, s0
	v_cmp_ne_u32_e64 s0, 0, v15
	v_fmac_f16_e32 v2, v75, v4
	v_bfe_u32 v19, v17, 20, 11
	v_mul_f16_sdwa v4, v75, v4 dst_sel:DWORD dst_unused:UNUSED_PAD src0_sel:WORD_1 src1_sel:DWORD
	v_or_b32_e32 v1, v22, v1
	v_cndmask_b32_e64 v15, 0, 1, s0
	v_cmp_gt_i32_e64 s0, 1, v20
	v_cvt_f32_f16_e32 v2, v2
	v_fma_f16 v4, v75, v14, -v4
	v_lshl_or_b32 v24, v12, 16, v13
	v_and_or_b32 v22, 0xffe, v18, v15
	v_cndmask_b32_e64 v16, v16, v1, s0
	v_sub_nc_u32_e32 v15, 0x3f1, v19
	v_cvt_f64_f32_e32 v[1:2], v2
	s_mul_i32 s0, s8, 0x240
	v_or_b32_e32 v23, 0x1000, v22
	v_and_b32_e32 v18, 7, v16
	v_med3_i32 v15, v15, 0, 13
	s_lshl_b64 s[6:7], s[0:1], 2
	v_lshrrev_b32_e32 v16, 2, v16
	v_add_co_u32 v12, s2, v8, s6
	v_cmp_lt_i32_e64 s0, 5, v18
	v_cmp_eq_u32_e64 s1, 3, v18
	v_lshrrev_b32_e32 v18, v15, v23
	v_add_co_ci_u32_e64 v13, s2, s7, v9, s2
	s_or_b32 s0, s1, s0
	v_lshlrev_b32_e32 v25, v15, v18
	v_add_co_ci_u32_e64 v16, s0, 0, v16, s0
	v_cmp_ne_u32_e64 s0, v25, v23
	v_mul_f64 v[14:15], v[1:2], s[4:5]
	v_add_nc_u32_e32 v23, 0xfffffc10, v19
	v_cvt_f32_f16_e32 v2, v4
	v_cndmask_b32_e64 v1, 0, 1, s0
	v_cmp_ne_u32_e64 s0, 0, v10
	v_lshl_or_b32 v10, v23, 12, v22
	v_or_b32_e32 v1, v18, v1
	v_cndmask_b32_e64 v4, 0, 1, s0
	v_cmp_gt_i32_e64 s0, 31, v20
	v_cvt_f64_f32_e32 v[18:19], v2
	v_lshl_or_b32 v4, v4, 9, 0x7c00
	v_cndmask_b32_e64 v2, 0x7c00, v16, s0
	v_cmp_gt_i32_e64 s0, 1, v23
	v_cndmask_b32_e64 v10, v10, v1, s0
	v_add_nc_u32_e32 v1, 0xa00, v62
	v_cmp_eq_u32_e64 s0, 0x40f, v20
	v_bfe_u32 v20, v15, 20, 11
	v_and_b32_e32 v16, 7, v10
	v_cndmask_b32_e64 v4, v2, v4, s0
	ds_read2_b32 v[1:2], v1 offset0:44 offset1:152
	global_store_dword v[8:9], v21, off
	global_store_dword v[12:13], v24, off
	v_and_or_b32 v8, 0x1ff, v15, v14
	v_cmp_lt_i32_e64 s0, 5, v16
	v_and_or_b32 v14, 0x8000, v11, v4
	v_lshrrev_b32_e32 v4, 2, v10
	v_lshrrev_b32_e32 v11, 8, v15
	v_cmp_ne_u32_e64 s2, 0, v8
	v_cmp_eq_u32_e64 s1, 3, v16
	v_mul_f64 v[8:9], v[18:19], s[4:5]
	v_and_b32_e32 v14, 0xffff, v14
	v_mad_u64_u32 v[12:13], null, 0xfffff8b0, s8, v[12:13]
	v_cndmask_b32_e64 v10, 0, 1, s2
	s_or_b32 s0, s1, s0
	v_add_co_ci_u32_e64 v4, s0, 0, v4, s0
	v_and_or_b32 v21, 0xffe, v11, v10
	v_sub_nc_u32_e32 v10, 0x3f1, v20
	v_cmp_ne_u32_e64 s0, 0, v22
	s_waitcnt lgkmcnt(0)
	v_lshrrev_b32_e32 v22, 16, v1
	v_add_nc_u32_e32 v20, 0xfffffc10, v20
	v_or_b32_e32 v16, 0x1000, v21
	v_med3_i32 v18, v10, 0, 13
	v_cndmask_b32_e64 v11, 0, 1, s0
	v_cmp_gt_i32_e64 s0, 31, v23
	v_mul_f16_sdwa v19, v74, v22 dst_sel:DWORD dst_unused:UNUSED_PAD src0_sel:WORD_1 src1_sel:DWORD
	v_lshrrev_b32_e32 v25, v18, v16
	v_lshl_or_b32 v24, v11, 9, 0x7c00
	v_cndmask_b32_e64 v4, 0x7c00, v4, s0
	v_cmp_eq_u32_e64 s0, 0x40f, v23
	v_mad_u64_u32 v[10:11], null, s8, v73, 0
	v_lshlrev_b32_e32 v18, v18, v25
	v_and_or_b32 v8, 0x1ff, v9, v8
	v_cndmask_b32_e64 v23, v4, v24, s0
	v_fmac_f16_e32 v19, v74, v1
	v_lshrrev_b32_e32 v24, 16, v17
	v_cmp_ne_u32_e64 s0, v18, v16
	v_mov_b32_e32 v4, v11
	v_lshrrev_b32_e32 v28, 8, v9
	v_cvt_f32_f16_e32 v17, v19
	v_bfe_u32 v29, v9, 20, 11
	v_cndmask_b32_e64 v11, 0, 1, s0
	v_cmp_ne_u32_e64 s0, 0, v8
	v_mad_u64_u32 v[18:19], null, s9, v73, v[4:5]
	v_cvt_f64_f32_e32 v[16:17], v17
	v_or_b32_e32 v11, v25, v11
	v_cndmask_b32_e64 v8, 0, 1, s0
	v_lshl_or_b32 v19, v20, 12, v21
	v_and_or_b32 v23, 0x8000, v24, v23
	v_cmp_gt_i32_e64 s0, 1, v20
	v_mul_f16_sdwa v1, v74, v1 dst_sel:DWORD dst_unused:UNUSED_PAD src0_sel:WORD_1 src1_sel:DWORD
	v_and_or_b32 v4, 0xffe, v28, v8
	v_sub_nc_u32_e32 v8, 0x3f1, v29
	v_lshl_or_b32 v23, v23, 16, v14
	v_cndmask_b32_e64 v19, v19, v11, s0
	v_mov_b32_e32 v11, v18
	v_or_b32_e32 v24, 0x1000, v4
	v_med3_i32 v8, v8, 0, 13
	v_fma_f16 v1, v74, v22, -v1
	v_and_b32_e32 v25, 7, v19
	v_lshrrev_b32_e32 v14, 2, v19
	v_add_nc_u32_e32 v22, 0xfffffc10, v29
	v_lshrrev_b32_e32 v18, v8, v24
	v_cvt_f32_f16_e32 v1, v1
	v_cmp_lt_i32_e64 s0, 5, v25
	v_lshlrev_b64 v[10:11], 2, v[10:11]
	v_mul_f64 v[16:17], v[16:17], s[4:5]
	v_lshlrev_b32_e32 v8, v8, v18
	v_cmp_ne_u32_e64 s1, v8, v24
	v_lshl_or_b32 v24, v22, 12, v4
	v_cndmask_b32_e64 v8, 0, 1, s1
	v_cmp_eq_u32_e64 s1, 3, v25
	v_or_b32_e32 v8, v18, v8
	s_or_b32 s0, s1, s0
	v_cvt_f64_f32_e32 v[18:19], v1
	v_add_co_ci_u32_e64 v1, s0, 0, v14, s0
	v_cmp_ne_u32_e64 s0, 0, v21
	v_and_or_b32 v16, 0x1ff, v17, v16
	v_bfe_u32 v25, v17, 20, 11
	v_cndmask_b32_e64 v14, 0, 1, s0
	v_cmp_gt_i32_e64 s0, 1, v22
	v_lshl_or_b32 v14, v14, 9, 0x7c00
	v_cndmask_b32_e64 v8, v24, v8, s0
	v_cmp_gt_i32_e64 s0, 31, v20
	v_lshrrev_b32_e32 v24, 8, v17
	v_lshrrev_b32_e32 v17, 16, v17
	v_and_b32_e32 v21, 7, v8
	v_cndmask_b32_e64 v1, 0x7c00, v1, s0
	v_cmp_ne_u32_e64 s0, 0, v16
	v_lshrrev_b32_e32 v8, 2, v8
	v_cmp_eq_u32_e64 s1, 3, v21
	v_cndmask_b32_e64 v16, 0, 1, s0
	v_cmp_eq_u32_e64 s0, 0x40f, v20
	v_lshrrev_b32_e32 v20, 16, v15
	v_and_or_b32 v16, 0xffe, v24, v16
	v_cndmask_b32_e64 v1, v1, v14, s0
	v_cmp_lt_i32_e64 s0, 5, v21
	v_mul_f64 v[14:15], v[18:19], s[4:5]
	v_sub_nc_u32_e32 v24, 0x3f1, v25
	v_or_b32_e32 v18, 0x1000, v16
	v_lshrrev_b32_e32 v21, 16, v3
	s_or_b32 s0, s1, s0
	v_and_or_b32 v1, 0x8000, v20, v1
	v_add_co_ci_u32_e64 v8, s0, 0, v8, s0
	v_med3_i32 v19, v24, 0, 13
	v_cmp_ne_u32_e64 s0, 0, v4
	v_mul_f16_sdwa v28, v72, v21 dst_sel:DWORD dst_unused:UNUSED_PAD src0_sel:WORD_1 src1_sel:DWORD
	v_lshrrev_b32_e32 v20, 16, v9
	v_and_b32_e32 v1, 0xffff, v1
	v_lshrrev_b32_e32 v24, v19, v18
	v_cndmask_b32_e64 v4, 0, 1, s0
	v_cmp_gt_i32_e64 s0, 31, v22
	v_fmac_f16_e32 v28, v72, v3
	v_mul_f16_sdwa v3, v72, v3 dst_sel:DWORD dst_unused:UNUSED_PAD src0_sel:WORD_1 src1_sel:DWORD
	v_lshlrev_b32_e32 v19, v19, v24
	v_lshl_or_b32 v4, v4, 9, 0x7c00
	v_cndmask_b32_e64 v8, 0x7c00, v8, s0
	v_cmp_eq_u32_e64 s0, 0x40f, v22
	v_and_or_b32 v14, 0x1ff, v15, v14
	v_add_nc_u32_e32 v22, 0xfffffc10, v25
	v_bfe_u32 v25, v15, 20, 11
	v_fma_f16 v3, v72, v21, -v3
	v_cndmask_b32_e64 v4, v8, v4, s0
	v_cmp_ne_u32_e64 s0, v19, v18
	v_cvt_f32_f16_e32 v8, v28
	v_lshrrev_b32_e32 v19, 8, v15
	v_cvt_f32_f16_e32 v3, v3
	v_and_or_b32 v4, 0x8000, v20, v4
	v_cndmask_b32_e64 v18, 0, 1, s0
	v_cmp_ne_u32_e64 s0, 0, v14
	v_cvt_f64_f32_e32 v[8:9], v8
	v_lshl_or_b32 v20, v22, 12, v16
	v_lshl_or_b32 v1, v4, 16, v1
	v_or_b32_e32 v18, v24, v18
	v_cndmask_b32_e64 v14, 0, 1, s0
	v_cmp_gt_i32_e64 s0, 1, v22
	v_add_nc_u32_e32 v21, 0xfffffc10, v25
	v_lshrrev_b32_e32 v15, 16, v15
	v_and_or_b32 v14, 0xffe, v19, v14
	v_sub_nc_u32_e32 v19, 0x3f1, v25
	v_cndmask_b32_e64 v20, v20, v18, s0
	v_add_co_u32 v10, s0, v26, v10
	v_or_b32_e32 v18, 0x1000, v14
	v_med3_i32 v19, v19, 0, 13
	v_and_b32_e32 v4, 7, v20
	v_add_co_ci_u32_e64 v11, s0, v27, v11, s0
	v_lshrrev_b32_e32 v24, v19, v18
	v_cmp_lt_i32_e64 s0, 5, v4
	v_mul_f64 v[8:9], v[8:9], s[4:5]
	v_cmp_eq_u32_e64 s1, 3, v4
	v_lshlrev_b32_e32 v19, v19, v24
	s_or_b32 s0, s1, s0
	v_cmp_ne_u32_e64 s2, v19, v18
	v_cvt_f64_f32_e32 v[18:19], v3
	v_lshrrev_b32_e32 v3, 2, v20
	v_lshl_or_b32 v20, v21, 12, v14
	v_cndmask_b32_e64 v4, 0, 1, s2
	s_sub_i32 s2, s3, s8
	v_add_co_ci_u32_e64 v3, s0, 0, v3, s0
	v_cmp_ne_u32_e64 s0, 0, v16
	v_or_b32_e32 v4, v24, v4
	v_add_nc_u32_e32 v13, s2, v13
	v_cndmask_b32_e64 v16, 0, 1, s0
	v_cmp_gt_i32_e64 s0, 1, v21
	v_lshrrev_b32_e32 v27, 8, v9
	v_bfe_u32 v28, v9, 20, 11
	v_lshl_or_b32 v16, v16, 9, 0x7c00
	v_cndmask_b32_e64 v20, v20, v4, s0
	v_and_or_b32 v4, 0x1ff, v9, v8
	v_cmp_gt_i32_e64 s0, 31, v22
	v_lshrrev_b32_e32 v9, 16, v9
	v_and_b32_e32 v25, 7, v20
	v_cndmask_b32_e64 v24, 0x7c00, v3, s0
	v_cmp_ne_u32_e64 s0, 0, v4
	ds_read2_b32 v[3:4], v7 offset0:88 offset1:196
	v_cmp_eq_u32_e64 s1, 3, v25
	v_mul_f64 v[7:8], v[18:19], s[4:5]
	v_sub_nc_u32_e32 v19, 0x3f1, v28
	v_cndmask_b32_e64 v26, 0, 1, s0
	v_cmp_eq_u32_e64 s0, 0x40f, v22
	global_store_dword v[10:11], v23, off
	global_store_dword v[12:13], v1, off
	v_med3_i32 v19, v19, 0, 13
	v_and_or_b32 v18, 0xffe, v27, v26
	v_cndmask_b32_e64 v16, v24, v16, s0
	v_cmp_lt_i32_e64 s0, 5, v25
	v_and_or_b32 v22, 0x8000, v17, v16
	v_lshrrev_b32_e32 v16, 2, v20
	s_or_b32 s0, s1, s0
	v_or_b32_e32 v17, 0x1000, v18
	s_waitcnt lgkmcnt(0)
	v_lshrrev_b32_e32 v24, 16, v3
	v_add_co_ci_u32_e64 v16, s0, 0, v16, s0
	v_cmp_ne_u32_e64 s0, 0, v14
	v_lshrrev_b32_e32 v20, v19, v17
	v_and_or_b32 v7, 0x1ff, v8, v7
	v_mul_f16_sdwa v25, v71, v24 dst_sel:DWORD dst_unused:UNUSED_PAD src0_sel:WORD_1 src1_sel:DWORD
	v_cndmask_b32_e64 v14, 0, 1, s0
	v_cmp_gt_i32_e64 s0, 31, v21
	v_lshlrev_b32_e32 v19, v19, v20
	v_fmac_f16_e32 v25, v71, v3
	v_mul_f16_sdwa v3, v71, v3 dst_sel:DWORD dst_unused:UNUSED_PAD src0_sel:WORD_1 src1_sel:DWORD
	v_lshl_or_b32 v14, v14, 9, 0x7c00
	v_cndmask_b32_e64 v16, 0x7c00, v16, s0
	v_cmp_eq_u32_e64 s0, 0x40f, v21
	v_cvt_f32_f16_e32 v21, v25
	v_add_nc_u32_e32 v25, 0xfffffc10, v28
	v_fma_f16 v3, v71, v24, -v3
	v_cndmask_b32_e64 v14, v16, v14, s0
	v_cmp_ne_u32_e64 s0, v19, v17
	v_lshrrev_b32_e32 v17, 8, v8
	v_bfe_u32 v19, v8, 20, 11
	v_cvt_f32_f16_e32 v3, v3
	v_and_or_b32 v14, 0x8000, v15, v14
	v_cndmask_b32_e64 v16, 0, 1, s0
	v_cmp_ne_u32_e64 s0, 0, v7
	v_sub_nc_u32_e32 v26, 0x3f1, v19
	v_and_b32_e32 v15, 0xffff, v22
	v_lshrrev_b32_e32 v8, 16, v8
	v_or_b32_e32 v20, v20, v16
	v_cndmask_b32_e64 v7, 0, 1, s0
	v_cmp_gt_i32_e64 s0, 1, v25
	v_med3_i32 v26, v26, 0, 13
	v_lshl_or_b32 v1, v14, 16, v15
	v_and_or_b32 v7, 0xffe, v17, v7
	v_cvt_f64_f32_e32 v[16:17], v21
	v_lshl_or_b32 v21, v25, 12, v18
	v_or_b32_e32 v27, 0x1000, v7
	v_cndmask_b32_e64 v20, v21, v20, s0
	v_lshrrev_b32_e32 v21, v26, v27
	v_and_b32_e32 v22, 7, v20
	v_lshrrev_b32_e32 v14, 2, v20
	v_lshlrev_b32_e32 v10, v26, v21
	v_cmp_lt_i32_e64 s0, 5, v22
	v_cmp_eq_u32_e64 s1, 3, v22
	v_cmp_ne_u32_e64 s2, v10, v27
	v_mul_f64 v[10:11], v[16:17], s[4:5]
	s_or_b32 s0, s1, s0
	v_cndmask_b32_e64 v15, 0, 1, s2
	v_add_co_ci_u32_e64 v17, s0, 0, v14, s0
	v_add_nc_u32_e32 v16, 0xfffffc10, v19
	v_cmp_ne_u32_e64 s0, 0, v18
	v_or_b32_e32 v14, v21, v15
	v_lshrrev_b32_e32 v21, 16, v2
	v_lshl_or_b32 v15, v16, 12, v7
	v_cndmask_b32_e64 v18, 0, 1, s0
	v_cmp_gt_i32_e64 s0, 1, v16
	v_mul_f16_sdwa v22, v70, v21 dst_sel:DWORD dst_unused:UNUSED_PAD src0_sel:WORD_1 src1_sel:DWORD
	v_cndmask_b32_e64 v19, v15, v14, s0
	v_cvt_f64_f32_e32 v[14:15], v3
	v_cmp_gt_i32_e64 s0, 31, v25
	v_fmac_f16_e32 v22, v70, v2
	v_mul_f16_sdwa v2, v70, v2 dst_sel:DWORD dst_unused:UNUSED_PAD src0_sel:WORD_1 src1_sel:DWORD
	v_and_or_b32 v10, 0x1ff, v11, v10
	v_cndmask_b32_e64 v3, 0x7c00, v17, s0
	v_add_co_u32 v12, s0, v12, s6
	v_add_co_ci_u32_e64 v13, s0, s7, v13, s0
	v_lshl_or_b32 v17, v18, 9, 0x7c00
	v_and_b32_e32 v18, 7, v19
	v_cmp_eq_u32_e64 s0, 0x40f, v25
	v_cmp_ne_u32_e64 s2, 0, v10
	global_store_dword v[12:13], v1, off
	v_fma_f16 v2, v70, v21, -v2
	v_cmp_eq_u32_e64 s1, 3, v18
	v_cndmask_b32_e64 v3, v3, v17, s0
	v_cmp_lt_i32_e64 s0, 5, v18
	v_lshrrev_b32_e32 v17, 2, v19
	v_cndmask_b32_e64 v10, 0, 1, s2
	v_lshrrev_b32_e32 v18, 8, v11
	v_bfe_u32 v19, v11, 20, 11
	v_mul_f64 v[14:15], v[14:15], s[4:5]
	s_or_b32 s0, s1, s0
	v_and_or_b32 v3, 0x8000, v9, v3
	v_and_or_b32 v18, 0xffe, v18, v10
	v_sub_nc_u32_e32 v10, 0x3f1, v19
	v_add_co_ci_u32_e64 v17, s0, 0, v17, s0
	v_cmp_ne_u32_e64 s0, 0, v7
	v_or_b32_e32 v20, 0x1000, v18
	v_med3_i32 v10, v10, 0, 13
	v_cvt_f32_f16_e32 v9, v22
	v_and_b32_e32 v3, 0xffff, v3
	v_cndmask_b32_e64 v7, 0, 1, s0
	v_cmp_gt_i32_e64 s0, 31, v16
	v_lshrrev_b32_e32 v23, v10, v20
	v_cvt_f32_f16_e32 v2, v2
	v_lshrrev_b32_e32 v11, 16, v11
	v_lshl_or_b32 v7, v7, 9, 0x7c00
	v_cndmask_b32_e64 v17, 0x7c00, v17, s0
	v_cmp_eq_u32_e64 s0, 0x40f, v16
	v_lshlrev_b32_e32 v1, v10, v23
	v_add_nc_u32_e32 v16, 0xfffffc10, v19
	v_and_or_b32 v14, 0x1ff, v15, v14
	v_cndmask_b32_e64 v7, v17, v7, s0
	v_cmp_ne_u32_e64 s0, v1, v20
	v_bfe_u32 v17, v15, 20, 11
	v_lshl_or_b32 v19, v16, 12, v18
	v_and_or_b32 v10, 0x8000, v8, v7
	v_cndmask_b32_e64 v1, 0, 1, s0
	v_cmp_ne_u32_e64 s0, 0, v14
	v_cvt_f64_f32_e32 v[7:8], v9
	v_lshrrev_b32_e32 v14, 8, v15
	v_lshl_or_b32 v3, v10, 16, v3
	v_or_b32_e32 v1, v23, v1
	v_cndmask_b32_e64 v9, 0, 1, s0
	v_cmp_gt_i32_e64 s0, 1, v16
	v_and_or_b32 v14, 0xffe, v14, v9
	v_sub_nc_u32_e32 v9, 0x3f1, v17
	v_cndmask_b32_e64 v1, v19, v1, s0
	v_add_nc_u32_e32 v17, 0xfffffc10, v17
	v_or_b32_e32 v19, 0x1000, v14
	v_med3_i32 v20, v9, 0, 13
	v_add_co_u32 v9, s0, v12, s6
	v_add_co_ci_u32_e64 v10, s0, s7, v13, s0
	v_lshrrev_b32_e32 v12, v20, v19
	v_and_b32_e32 v13, 7, v1
	v_mul_f64 v[7:8], v[7:8], s[4:5]
	global_store_dword v[9:10], v3, off
	v_lshrrev_b32_e32 v1, 2, v1
	v_lshlrev_b32_e32 v3, v20, v12
	v_cmp_lt_i32_e64 s0, 5, v13
	v_cmp_eq_u32_e64 s1, 3, v13
	v_cmp_ne_u32_e64 s2, v3, v19
	v_lshl_or_b32 v19, v17, 12, v14
	s_or_b32 s0, s1, s0
	v_add_co_ci_u32_e64 v1, s0, 0, v1, s0
	v_cndmask_b32_e64 v3, 0, 1, s2
	v_cmp_ne_u32_e64 s0, 0, v18
	s_mul_i32 s2, s9, 0xfffffbec
	v_or_b32_e32 v3, v12, v3
	v_cvt_f64_f32_e32 v[12:13], v2
	v_cndmask_b32_e64 v2, 0, 1, s0
	v_cmp_gt_i32_e64 s0, 1, v17
	v_lshrrev_b32_e32 v21, 8, v8
	v_bfe_u32 v22, v8, 20, 11
	v_cndmask_b32_e64 v18, v19, v3, s0
	v_and_or_b32 v3, 0x1ff, v8, v7
	v_cmp_gt_i32_e64 s0, 31, v16
	v_lshl_or_b32 v7, v2, 9, 0x7c00
	v_lshrrev_b32_e32 v8, 16, v8
	v_and_b32_e32 v19, 7, v18
	v_lshrrev_b32_e32 v18, 2, v18
	v_cndmask_b32_e64 v1, 0x7c00, v1, s0
	v_cmp_ne_u32_e64 s0, 0, v3
	ds_read2_b32 v[2:3], v6 offset0:88 offset1:196
	v_cmp_eq_u32_e64 s1, 3, v19
	v_cndmask_b32_e64 v20, 0, 1, s0
	v_cmp_eq_u32_e64 s0, 0x40f, v16
	v_and_or_b32 v16, 0xffe, v21, v20
	v_cndmask_b32_e64 v1, v1, v7, s0
	v_cmp_lt_i32_e64 s0, 5, v19
	v_mul_f64 v[6:7], v[12:13], s[4:5]
	v_sub_nc_u32_e32 v20, 0x3f1, v22
	v_or_b32_e32 v12, 0x1000, v16
	v_and_or_b32 v21, 0x8000, v11, v1
	s_or_b32 s0, s1, s0
	v_add_co_ci_u32_e64 v18, s0, 0, v18, s0
	v_med3_i32 v13, v20, 0, 13
	v_cmp_ne_u32_e64 s0, 0, v14
	s_waitcnt lgkmcnt(0)
	v_lshrrev_b32_e32 v20, 16, v2
	v_lshrrev_b32_e32 v19, v13, v12
	v_cndmask_b32_e64 v14, 0, 1, s0
	v_cmp_gt_i32_e64 s0, 31, v17
	v_mul_f16_sdwa v11, v69, v20 dst_sel:DWORD dst_unused:UNUSED_PAD src0_sel:WORD_1 src1_sel:DWORD
	v_lshlrev_b32_e32 v13, v13, v19
	v_lshl_or_b32 v14, v14, 9, 0x7c00
	v_cndmask_b32_e64 v18, 0x7c00, v18, s0
	v_cmp_eq_u32_e64 s0, 0x40f, v17
	v_and_or_b32 v6, 0x1ff, v7, v6
	v_fmac_f16_e32 v11, v69, v2
	v_lshrrev_b32_e32 v17, 8, v7
	v_mul_f16_sdwa v2, v69, v2 dst_sel:DWORD dst_unused:UNUSED_PAD src0_sel:WORD_1 src1_sel:DWORD
	v_cndmask_b32_e64 v1, v18, v14, s0
	v_cmp_ne_u32_e64 s0, v13, v12
	v_add_nc_u32_e32 v13, 0xfffffc10, v22
	v_bfe_u32 v18, v7, 20, 11
	v_lshrrev_b32_e32 v14, 16, v15
	v_cvt_f32_f16_e32 v11, v11
	v_cndmask_b32_e64 v12, 0, 1, s0
	v_cmp_ne_u32_e64 s0, 0, v6
	v_lshl_or_b32 v15, v13, 12, v16
	v_and_or_b32 v14, 0x8000, v14, v1
	v_fma_f16 v2, v69, v20, -v2
	v_or_b32_e32 v12, v19, v12
	v_cndmask_b32_e64 v6, 0, 1, s0
	v_cmp_gt_i32_e64 s0, 1, v13
	v_and_b32_e32 v20, 0xffff, v21
	v_lshrrev_b32_e32 v7, 16, v7
	v_and_or_b32 v6, 0xffe, v17, v6
	v_sub_nc_u32_e32 v17, 0x3f1, v18
	v_cndmask_b32_e64 v15, v15, v12, s0
	v_cvt_f64_f32_e32 v[11:12], v11
	s_mul_hi_u32 s0, s8, 0xfffffbec
	v_or_b32_e32 v19, 0x1000, v6
	v_med3_i32 v17, v17, 0, 13
	v_and_b32_e32 v1, 7, v15
	s_sub_i32 s3, s0, s8
	v_add_nc_u32_e32 v18, 0xfffffc10, v18
	s_add_i32 s3, s3, s2
	v_lshrrev_b32_e32 v22, v17, v19
	v_cmp_lt_i32_e64 s0, 5, v1
	v_cmp_eq_u32_e64 s1, 3, v1
	v_lshrrev_b32_e32 v1, 2, v15
	s_mul_i32 s2, s8, 0xfffffbec
	v_lshlrev_b32_e32 v15, v17, v22
	s_lshl_b64 s[8:9], s[2:3], 2
	s_or_b32 s0, s1, s0
	v_add_co_ci_u32_e64 v17, s0, 0, v1, s0
	v_cmp_ne_u32_e64 s0, v15, v19
	v_cvt_f32_f16_e32 v1, v2
	v_lshl_or_b32 v19, v18, 12, v6
	v_mul_f64 v[11:12], v[11:12], s[4:5]
	v_cndmask_b32_e64 v15, 0, 1, s0
	v_cmp_ne_u32_e64 s0, 0, v16
	v_cvt_f64_f32_e32 v[1:2], v1
	v_or_b32_e32 v15, v22, v15
	v_cndmask_b32_e64 v16, 0, 1, s0
	v_cmp_gt_i32_e64 s0, 31, v13
	v_lshl_or_b32 v16, v16, 9, 0x7c00
	v_cndmask_b32_e64 v17, 0x7c00, v17, s0
	v_cmp_gt_i32_e64 s0, 1, v18
	v_cndmask_b32_e64 v15, v19, v15, s0
	v_cmp_eq_u32_e64 s0, 0x40f, v13
	v_and_or_b32 v11, 0x1ff, v12, v11
	v_cndmask_b32_e64 v13, v17, v16, s0
	v_and_b32_e32 v16, 7, v15
	v_lshl_or_b32 v17, v14, 16, v20
	v_cmp_ne_u32_e64 s2, 0, v11
	v_lshrrev_b32_e32 v11, 8, v12
	v_and_or_b32 v8, 0x8000, v8, v13
	v_mul_f64 v[13:14], v[1:2], s[4:5]
	v_cmp_lt_i32_e64 s0, 5, v16
	v_cmp_eq_u32_e64 s1, 3, v16
	v_lshrrev_b32_e32 v1, 2, v15
	v_cndmask_b32_e64 v2, 0, 1, s2
	v_bfe_u32 v15, v12, 20, 11
	v_lshrrev_b32_e32 v16, 16, v4
	s_or_b32 s0, s1, s0
	v_and_b32_e32 v8, 0xffff, v8
	v_add_co_ci_u32_e64 v1, s0, 0, v1, s0
	v_and_or_b32 v19, 0xffe, v11, v2
	v_sub_nc_u32_e32 v2, 0x3f1, v15
	v_cmp_ne_u32_e64 s0, 0, v6
	v_mul_f16_sdwa v20, v68, v16 dst_sel:DWORD dst_unused:UNUSED_PAD src0_sel:WORD_1 src1_sel:DWORD
	v_lshrrev_b32_e32 v12, 16, v12
	v_or_b32_e32 v11, 0x1000, v19
	v_med3_i32 v2, v2, 0, 13
	v_cndmask_b32_e64 v6, 0, 1, s0
	v_cmp_gt_i32_e64 s0, 31, v18
	v_fmac_f16_e32 v20, v68, v4
	v_lshrrev_b32_e32 v21, v2, v11
	v_lshl_or_b32 v6, v6, 9, 0x7c00
	v_cndmask_b32_e64 v1, 0x7c00, v1, s0
	v_and_or_b32 v13, 0x1ff, v14, v13
	v_cmp_eq_u32_e64 s0, 0x40f, v18
	v_lshlrev_b32_e32 v18, v2, v21
	v_bfe_u32 v22, v14, 20, 11
	v_cndmask_b32_e64 v6, v1, v6, s0
	v_cmp_ne_u32_e64 s0, 0, v13
	v_cvt_f32_f16_e32 v1, v20
	v_lshrrev_b32_e32 v20, 8, v14
	v_lshrrev_b32_e32 v14, 16, v14
	v_and_or_b32 v23, 0x8000, v7, v6
	v_cndmask_b32_e64 v13, 0, 1, s0
	v_cmp_ne_u32_e64 s0, v18, v11
	v_cvt_f64_f32_e32 v[1:2], v1
	v_add_nc_u32_e32 v18, 0xfffffc10, v15
	v_sub_nc_u32_e32 v15, 0x3f1, v22
	v_and_or_b32 v13, 0xffe, v20, v13
	v_cndmask_b32_e64 v11, 0, 1, s0
	v_lshl_or_b32 v23, v23, 16, v8
	v_lshl_or_b32 v20, v18, 12, v19
	v_med3_i32 v15, v15, 0, 13
	v_cmp_gt_i32_e64 s0, 1, v18
	v_or_b32_e32 v11, v21, v11
	v_or_b32_e32 v21, 0x1000, v13
	v_cndmask_b32_e64 v20, v20, v11, s0
	v_lshrrev_b32_e32 v24, v15, v21
	v_add_co_u32 v6, s0, v9, s8
	v_add_co_ci_u32_e64 v7, s0, s9, v10, s0
	v_lshlrev_b32_e32 v15, v15, v24
	v_and_b32_e32 v25, 7, v20
	v_mul_f64 v[8:9], v[1:2], s[4:5]
	v_mul_f16_sdwa v1, v68, v4 dst_sel:DWORD dst_unused:UNUSED_PAD src0_sel:WORD_1 src1_sel:DWORD
	v_add_co_u32 v10, s0, v6, s6
	v_cmp_ne_u32_e64 s1, v15, v21
	v_add_co_ci_u32_e64 v11, s0, s7, v7, s0
	v_cmp_lt_i32_e64 s0, 5, v25
	v_fma_f16 v1, v68, v16, -v1
	v_cndmask_b32_e64 v2, 0, 1, s1
	v_cmp_eq_u32_e64 s1, 3, v25
	v_lshrrev_b32_e32 v4, 2, v20
	v_add_nc_u32_e32 v21, 0xfffffc10, v22
	v_cvt_f32_f16_e32 v1, v1
	v_or_b32_e32 v2, v24, v2
	s_or_b32 s0, s1, s0
	v_add_co_ci_u32_e64 v4, s0, 0, v4, s0
	v_cmp_ne_u32_e64 s0, 0, v19
	v_cvt_f64_f32_e32 v[15:16], v1
	v_lshl_or_b32 v20, v21, 12, v13
	v_and_or_b32 v8, 0x1ff, v9, v8
	v_lshrrev_b32_e32 v22, 8, v9
	v_cndmask_b32_e64 v19, 0, 1, s0
	v_cmp_gt_i32_e64 s0, 1, v21
	v_bfe_u32 v24, v9, 20, 11
	v_cndmask_b32_e64 v20, v20, v2, s0
	v_cmp_gt_i32_e64 s0, 31, v18
	ds_read2_b32 v[1:2], v5 offset0:132 offset1:240
	v_lshl_or_b32 v5, v19, 9, 0x7c00
	global_store_dword v[6:7], v17, off
	global_store_dword v[10:11], v23, off
	v_and_b32_e32 v19, 7, v20
	v_cndmask_b32_e64 v4, 0x7c00, v4, s0
	v_cmp_ne_u32_e64 s0, 0, v8
	v_cmp_eq_u32_e64 s1, 3, v19
	v_cndmask_b32_e64 v8, 0, 1, s0
	v_cmp_eq_u32_e64 s0, 0x40f, v18
	v_and_or_b32 v8, 0xffe, v22, v8
	v_cndmask_b32_e64 v18, v4, v5, s0
	v_cmp_lt_i32_e64 s0, 5, v19
	v_mul_f64 v[4:5], v[15:16], s[4:5]
	v_lshrrev_b32_e32 v15, 2, v20
	v_sub_nc_u32_e32 v22, 0x3f1, v24
	v_or_b32_e32 v16, 0x1000, v8
	s_or_b32 s0, s1, s0
	s_waitcnt lgkmcnt(0)
	v_lshrrev_b32_e32 v20, 16, v1
	v_add_co_ci_u32_e64 v15, s0, 0, v15, s0
	v_med3_i32 v19, v22, 0, 13
	v_cmp_ne_u32_e64 s0, 0, v13
	v_mul_f16_sdwa v22, v67, v20 dst_sel:DWORD dst_unused:UNUSED_PAD src0_sel:WORD_1 src1_sel:DWORD
	v_and_or_b32 v18, 0x8000, v12, v18
	v_lshrrev_b32_e32 v25, v19, v16
	v_cndmask_b32_e64 v13, 0, 1, s0
	v_cmp_gt_i32_e64 s0, 31, v21
	v_fmac_f16_e32 v22, v67, v1
	v_mul_f16_sdwa v1, v67, v1 dst_sel:DWORD dst_unused:UNUSED_PAD src0_sel:WORD_1 src1_sel:DWORD
	v_lshlrev_b32_e32 v12, v19, v25
	v_lshl_or_b32 v13, v13, 9, 0x7c00
	v_cndmask_b32_e64 v15, 0x7c00, v15, s0
	v_cmp_eq_u32_e64 s0, 0x40f, v21
	v_and_or_b32 v4, 0x1ff, v5, v4
	v_add_nc_u32_e32 v19, 0xfffffc10, v24
	v_lshrrev_b32_e32 v21, 8, v5
	v_fma_f16 v1, v67, v20, -v1
	v_cndmask_b32_e64 v15, v15, v13, s0
	v_cmp_ne_u32_e64 s0, v12, v16
	v_cvt_f32_f16_e32 v13, v22
	v_bfe_u32 v22, v5, 20, 11
	v_lshl_or_b32 v24, v19, 12, v8
	v_and_or_b32 v14, 0x8000, v14, v15
	v_cndmask_b32_e64 v16, 0, 1, s0
	v_cmp_ne_u32_e64 s0, 0, v4
	v_cvt_f64_f32_e32 v[12:13], v13
	v_and_b32_e32 v15, 0xffff, v18
	v_cvt_f32_f16_e32 v1, v1
	v_or_b32_e32 v16, v25, v16
	v_cndmask_b32_e64 v4, 0, 1, s0
	v_cmp_gt_i32_e64 s0, 1, v19
	v_lshl_or_b32 v14, v14, 16, v15
	v_lshrrev_b32_e32 v20, 16, v3
	v_lshrrev_b32_e32 v5, 16, v5
	v_and_or_b32 v4, 0xffe, v21, v4
	v_sub_nc_u32_e32 v21, 0x3f1, v22
	v_cndmask_b32_e64 v16, v24, v16, s0
	v_or_b32_e32 v18, 0x1000, v4
	v_med3_i32 v21, v21, 0, 13
	v_and_b32_e32 v24, 7, v16
	v_lshrrev_b32_e32 v15, v21, v18
	v_cmp_lt_i32_e64 s0, 5, v24
	v_cmp_eq_u32_e64 s1, 3, v24
	v_mul_f64 v[6:7], v[12:13], s[4:5]
	v_lshrrev_b32_e32 v12, 2, v16
	v_lshlrev_b32_e32 v13, v21, v15
	v_add_nc_u32_e32 v16, 0xfffffc10, v22
	s_or_b32 s0, s1, s0
	v_mul_f16_sdwa v21, v66, v20 dst_sel:DWORD dst_unused:UNUSED_PAD src0_sel:WORD_1 src1_sel:DWORD
	v_add_co_ci_u32_e64 v12, s0, 0, v12, s0
	v_cmp_ne_u32_e64 s0, v13, v18
	v_lshrrev_b32_e32 v18, 16, v9
	v_fmac_f16_e32 v21, v66, v3
	v_mul_f16_sdwa v3, v66, v3 dst_sel:DWORD dst_unused:UNUSED_PAD src0_sel:WORD_1 src1_sel:DWORD
	v_cndmask_b32_e64 v13, 0, 1, s0
	v_cmp_ne_u32_e64 s0, 0, v8
	v_fma_f16 v3, v66, v20, -v3
	v_or_b32_e32 v13, v15, v13
	v_cndmask_b32_e64 v8, 0, 1, s0
	v_cmp_gt_i32_e64 s0, 31, v19
	v_lshl_or_b32 v15, v16, 12, v4
	v_cvt_f32_f16_e32 v3, v3
	v_lshl_or_b32 v8, v8, 9, 0x7c00
	v_cndmask_b32_e64 v17, 0x7c00, v12, s0
	v_cmp_gt_i32_e64 s0, 1, v16
	v_cndmask_b32_e64 v15, v15, v13, s0
	v_cvt_f64_f32_e32 v[12:13], v1
	v_add_co_u32 v10, s0, v10, s6
	v_add_co_ci_u32_e64 v11, s0, s7, v11, s0
	v_and_or_b32 v1, 0x1ff, v7, v6
	v_cmp_eq_u32_e64 s0, 0x40f, v19
	v_bfe_u32 v19, v7, 20, 11
	global_store_dword v[10:11], v14, off
	v_cndmask_b32_e64 v6, v17, v8, s0
	v_cmp_ne_u32_e64 s0, 0, v1
	v_and_b32_e32 v8, 7, v15
	v_lshrrev_b32_e32 v17, 8, v7
	v_lshrrev_b32_e32 v15, 2, v15
	v_and_or_b32 v6, 0x8000, v18, v6
	v_cndmask_b32_e64 v1, 0, 1, s0
	v_cmp_lt_i32_e64 s0, 5, v8
	v_cmp_eq_u32_e64 s1, 3, v8
	v_mul_f64 v[8:9], v[12:13], s[4:5]
	v_and_or_b32 v1, 0xffe, v17, v1
	v_sub_nc_u32_e32 v17, 0x3f1, v19
	s_or_b32 s0, s1, s0
	v_add_co_ci_u32_e64 v13, s0, 0, v15, s0
	v_or_b32_e32 v22, 0x1000, v1
	v_med3_i32 v12, v17, 0, 13
	v_cmp_ne_u32_e64 s0, 0, v4
	v_cvt_f32_f16_e32 v17, v21
	v_lshrrev_b32_e32 v15, v12, v22
	v_cndmask_b32_e64 v4, 0, 1, s0
	v_cmp_gt_i32_e64 s0, 31, v16
	v_lshlrev_b32_e32 v18, v12, v15
	v_lshl_or_b32 v4, v4, 9, 0x7c00
	v_cndmask_b32_e64 v21, 0x7c00, v13, s0
	v_cmp_eq_u32_e64 s0, 0x40f, v16
	v_cvt_f64_f32_e32 v[12:13], v17
	v_and_or_b32 v8, 0x1ff, v9, v8
	v_add_nc_u32_e32 v17, 0xfffffc10, v19
	v_cndmask_b32_e64 v4, v21, v4, s0
	v_cmp_ne_u32_e64 s0, v18, v22
	v_bfe_u32 v18, v9, 20, 11
	v_and_or_b32 v4, 0x8000, v5, v4
	v_cndmask_b32_e64 v16, 0, 1, s0
	v_cmp_ne_u32_e64 s0, 0, v8
	v_and_b32_e32 v5, 0xffff, v6
	v_sub_nc_u32_e32 v14, 0x3f1, v18
	v_or_b32_e32 v6, v15, v16
	v_cndmask_b32_e64 v8, 0, 1, s0
	v_lshrrev_b32_e32 v16, 8, v9
	v_lshl_or_b32 v15, v17, 12, v1
	v_cmp_gt_i32_e64 s0, 1, v17
	v_lshrrev_b32_e32 v9, 16, v9
	v_and_or_b32 v8, 0xffe, v16, v8
	v_cndmask_b32_e64 v6, v15, v6, s0
	v_lshl_or_b32 v15, v4, 16, v5
	v_mul_f64 v[4:5], v[12:13], s[4:5]
	v_or_b32_e32 v12, 0x1000, v8
	v_med3_i32 v13, v14, 0, 13
	v_and_b32_e32 v16, 7, v6
	v_add_co_u32 v10, s0, v10, s8
	v_add_co_ci_u32_e64 v11, s0, s9, v11, s0
	v_lshrrev_b32_e32 v14, v13, v12
	v_cmp_lt_i32_e64 s0, 5, v16
	v_cmp_eq_u32_e64 s1, 3, v16
	v_lshrrev_b32_e32 v6, 2, v6
	global_store_dword v[10:11], v15, off
	v_lshlrev_b32_e32 v13, v13, v14
	s_or_b32 s0, s1, s0
	v_add_co_ci_u32_e64 v6, s0, 0, v6, s0
	v_cmp_ne_u32_e64 s0, v13, v12
	v_add_nc_u32_e32 v13, 0xfffffc10, v18
	v_and_or_b32 v15, 0x1ff, v5, v4
	v_cvt_f64_f32_e32 v[3:4], v3
	v_cndmask_b32_e64 v12, 0, 1, s0
	v_cmp_gt_i32_e64 s0, 31, v17
	v_lshrrev_b32_e32 v16, 8, v5
	v_bfe_u32 v18, v5, 20, 11
	v_or_b32_e32 v12, v14, v12
	v_cndmask_b32_e64 v6, 0x7c00, v6, s0
	v_cmp_ne_u32_e64 s0, 0, v15
	v_lshl_or_b32 v14, v13, 12, v8
	v_cndmask_b32_e64 v15, 0, 1, s0
	v_cmp_ne_u32_e64 s0, 0, v1
	v_cndmask_b32_e64 v1, 0, 1, s0
	v_cmp_gt_i32_e64 s0, 1, v13
	v_mul_f64 v[3:4], v[3:4], s[4:5]
	v_lshl_or_b32 v1, v1, 9, 0x7c00
	v_cndmask_b32_e64 v12, v14, v12, s0
	v_and_or_b32 v14, 0xffe, v16, v15
	v_sub_nc_u32_e32 v15, 0x3f1, v18
	v_cmp_eq_u32_e64 s0, 0x40f, v17
	v_lshrrev_b32_e32 v16, 16, v0
	v_and_b32_e32 v19, 7, v12
	v_or_b32_e32 v20, 0x1000, v14
	v_med3_i32 v15, v15, 0, 13
	v_cndmask_b32_e64 v1, v6, v1, s0
	v_lshrrev_b32_e32 v6, 2, v12
	v_cmp_lt_i32_e64 s0, 5, v19
	v_cmp_eq_u32_e64 s1, 3, v19
	v_lshrrev_b32_e32 v17, v15, v20
	v_mul_f16_sdwa v21, v65, v16 dst_sel:DWORD dst_unused:UNUSED_PAD src0_sel:WORD_1 src1_sel:DWORD
	v_lshrrev_b32_e32 v19, 16, v7
	v_add_nc_u32_e32 v18, 0xfffffc10, v18
	s_or_b32 s0, s1, s0
	v_lshlrev_b32_e32 v12, v15, v17
	v_add_co_ci_u32_e64 v15, s0, 0, v6, s0
	v_cmp_ne_u32_e64 s0, 0, v8
	v_fmac_f16_e32 v21, v65, v0
	v_and_or_b32 v3, 0x1ff, v4, v3
	v_and_or_b32 v1, 0x8000, v19, v1
	v_mul_f16_sdwa v0, v65, v0 dst_sel:DWORD dst_unused:UNUSED_PAD src0_sel:WORD_1 src1_sel:DWORD
	v_cndmask_b32_e64 v8, 0, 1, s0
	v_cmp_ne_u32_e64 s0, v12, v20
	v_cvt_f32_f16_e32 v7, v21
	v_and_b32_e32 v1, 0xffff, v1
	v_fma_f16 v0, v65, v16, -v0
	v_lshl_or_b32 v8, v8, 9, 0x7c00
	v_cndmask_b32_e64 v12, 0, 1, s0
	v_cmp_gt_i32_e64 s0, 31, v13
	v_cvt_f64_f32_e32 v[6:7], v7
	v_cvt_f32_f16_e32 v0, v0
	v_lshrrev_b32_e32 v21, 16, v2
	v_or_b32_e32 v12, v17, v12
	v_cndmask_b32_e64 v15, 0x7c00, v15, s0
	v_cmp_eq_u32_e64 s0, 0x40f, v13
	v_lshl_or_b32 v17, v18, 12, v14
	v_lshrrev_b32_e32 v13, 8, v4
	v_cndmask_b32_e64 v8, v15, v8, s0
	v_cmp_gt_i32_e64 s0, 1, v18
	v_bfe_u32 v15, v4, 20, 11
	v_and_or_b32 v8, 0x8000, v9, v8
	v_cndmask_b32_e64 v12, v17, v12, s0
	v_cmp_ne_u32_e64 s0, 0, v3
	v_lshl_or_b32 v16, v8, 16, v1
	v_and_b32_e32 v17, 7, v12
	v_cndmask_b32_e64 v3, 0, 1, s0
	v_mul_f64 v[6:7], v[6:7], s[4:5]
	v_lshrrev_b32_e32 v12, 2, v12
	v_cmp_lt_i32_e64 s0, 5, v17
	v_and_or_b32 v3, 0xffe, v13, v3
	v_sub_nc_u32_e32 v13, 0x3f1, v15
	v_cmp_eq_u32_e64 s1, 3, v17
	v_or_b32_e32 v9, 0x1000, v3
	v_med3_i32 v13, v13, 0, 13
	s_or_b32 s0, s1, s0
	v_add_co_ci_u32_e64 v12, s0, 0, v12, s0
	v_lshrrev_b32_e32 v17, v13, v9
	v_cmp_gt_i32_e64 s0, 31, v18
	v_lshlrev_b32_e32 v1, v13, v17
	v_cndmask_b32_e64 v8, 0x7c00, v12, s0
	v_and_or_b32 v6, 0x1ff, v7, v6
	v_add_nc_u32_e32 v12, 0xfffffc10, v15
	v_lshrrev_b32_e32 v13, 8, v7
	v_cmp_ne_u32_e64 s0, v1, v9
	v_cvt_f64_f32_e32 v[0:1], v0
	v_bfe_u32 v15, v7, 20, 11
	v_cndmask_b32_e64 v9, 0, 1, s0
	v_cmp_ne_u32_e64 s0, 0, v6
	v_or_b32_e32 v9, v17, v9
	v_cndmask_b32_e64 v6, 0, 1, s0
	v_cmp_ne_u32_e64 s0, 0, v14
	v_lshl_or_b32 v17, v12, 12, v3
	v_and_or_b32 v13, 0xffe, v13, v6
	v_cndmask_b32_e64 v14, 0, 1, s0
	v_sub_nc_u32_e32 v6, 0x3f1, v15
	v_cmp_gt_i32_e64 s0, 1, v12
	v_lshl_or_b32 v14, v14, 9, 0x7c00
	v_med3_i32 v19, v6, 0, 13
	v_cndmask_b32_e64 v9, v17, v9, s0
	v_or_b32_e32 v17, 0x1000, v13
	v_cmp_eq_u32_e64 s0, 0x40f, v18
	v_mul_f64 v[0:1], v[0:1], s[4:5]
	v_and_b32_e32 v18, 7, v9
	v_lshrrev_b32_e32 v20, v19, v17
	v_cndmask_b32_e64 v8, v8, v14, s0
	v_lshrrev_b32_e32 v14, 16, v5
	v_add_co_u32 v5, s0, v10, s6
	v_add_co_ci_u32_e64 v6, s0, s7, v11, s0
	v_mul_f16_sdwa v10, v64, v21 dst_sel:DWORD dst_unused:UNUSED_PAD src0_sel:WORD_1 src1_sel:DWORD
	v_and_or_b32 v11, 0x8000, v14, v8
	v_lshlrev_b32_e32 v8, v19, v20
	v_cmp_lt_i32_e64 s0, 5, v18
	v_cmp_eq_u32_e64 s1, 3, v18
	v_lshrrev_b32_e32 v9, 2, v9
	v_fmac_f16_e32 v10, v64, v2
	v_cmp_ne_u32_e64 s2, v8, v17
	v_add_nc_u32_e32 v14, 0xfffffc10, v15
	s_or_b32 s0, s1, s0
	v_and_b32_e32 v11, 0xffff, v11
	v_add_co_ci_u32_e64 v15, s0, 0, v9, s0
	v_cndmask_b32_e64 v8, 0, 1, s2
	v_cvt_f32_f16_e32 v10, v10
	v_cmp_ne_u32_e64 s0, 0, v3
	v_and_or_b32 v0, 0x1ff, v1, v0
	v_bfe_u32 v18, v1, 20, 11
	v_or_b32_e32 v17, v20, v8
	v_cvt_f64_f32_e32 v[8:9], v10
	v_lshl_or_b32 v10, v14, 12, v13
	v_cndmask_b32_e64 v3, 0, 1, s0
	v_cmp_gt_i32_e64 s0, 1, v14
	v_mul_f16_sdwa v2, v64, v2 dst_sel:DWORD dst_unused:UNUSED_PAD src0_sel:WORD_1 src1_sel:DWORD
	v_lshl_or_b32 v3, v3, 9, 0x7c00
	v_cndmask_b32_e64 v10, v10, v17, s0
	v_cmp_ne_u32_e64 s0, 0, v0
	v_lshrrev_b32_e32 v17, 8, v1
	v_fma_f16 v2, v64, v21, -v2
	v_and_b32_e32 v19, 7, v10
	v_cndmask_b32_e64 v0, 0, 1, s0
	v_cmp_gt_i32_e64 s0, 31, v12
	v_lshrrev_b32_e32 v10, 2, v10
	v_cvt_f32_f16_e32 v2, v2
	v_cmp_eq_u32_e64 s1, 3, v19
	v_and_or_b32 v0, 0xffe, v17, v0
	v_cndmask_b32_e64 v15, 0x7c00, v15, s0
	v_cmp_eq_u32_e64 s0, 0x40f, v12
	v_lshrrev_b32_e32 v17, 16, v4
	v_or_b32_e32 v20, 0x1000, v0
	v_cndmask_b32_e64 v12, v15, v3, s0
	v_sub_nc_u32_e32 v15, 0x3f1, v18
	v_cmp_lt_i32_e64 s0, 5, v19
	v_mul_f64 v[3:4], v[8:9], s[4:5]
	v_and_or_b32 v9, 0x8000, v17, v12
	v_med3_i32 v8, v15, 0, 13
	s_or_b32 s0, s1, s0
	v_add_nc_u32_e32 v15, 0xfffffc10, v18
	v_add_co_ci_u32_e64 v10, s0, 0, v10, s0
	v_lshrrev_b32_e32 v12, v8, v20
	v_cmp_ne_u32_e64 s0, 0, v13
	v_lshl_or_b32 v11, v9, 16, v11
	v_lshrrev_b32_e32 v18, 16, v7
	v_lshlrev_b32_e32 v8, v8, v12
	v_cndmask_b32_e64 v13, 0, 1, s0
	v_cmp_gt_i32_e64 s0, 31, v14
	v_cndmask_b32_e64 v9, 0x7c00, v10, s0
	v_cmp_ne_u32_e64 s0, v8, v20
	v_lshl_or_b32 v10, v13, 9, 0x7c00
	ds_read_b32 v13, v62 offset:6336
	v_and_or_b32 v3, 0x1ff, v4, v3
	v_bfe_u32 v17, v4, 20, 11
	v_cndmask_b32_e64 v8, 0, 1, s0
	v_cmp_eq_u32_e64 s0, 0x40f, v14
	v_lshrrev_b32_e32 v14, 8, v4
	v_lshrrev_b32_e32 v4, 16, v4
	v_or_b32_e32 v8, v12, v8
	v_cndmask_b32_e64 v9, v9, v10, s0
	v_cmp_ne_u32_e64 s0, 0, v3
	v_lshl_or_b32 v10, v15, 12, v0
	v_cvt_f64_f32_e32 v[2:3], v2
	v_and_or_b32 v18, 0x8000, v18, v9
	v_cndmask_b32_e64 v12, 0, 1, s0
	v_cmp_gt_i32_e64 s0, 1, v15
	v_and_or_b32 v12, 0xffe, v14, v12
	v_cndmask_b32_e64 v10, v10, v8, s0
	v_sub_nc_u32_e32 v8, 0x3f1, v17
	s_waitcnt lgkmcnt(0)
	v_lshrrev_b32_e32 v14, 16, v13
	v_add_co_u32 v7, s0, v5, s6
	v_or_b32_e32 v20, 0x1000, v12
	v_med3_i32 v21, v8, 0, 13
	v_and_b32_e32 v19, 7, v10
	v_mul_f16_sdwa v22, v63, v14 dst_sel:DWORD dst_unused:UNUSED_PAD src0_sel:WORD_1 src1_sel:DWORD
	v_add_co_ci_u32_e64 v8, s0, s7, v6, s0
	v_lshrrev_b32_e32 v23, v21, v20
	v_cmp_lt_i32_e64 s0, 5, v19
	v_fmac_f16_e32 v22, v63, v13
	v_cmp_eq_u32_e64 s1, 3, v19
	v_lshrrev_b32_e32 v9, 2, v10
	v_lshlrev_b32_e32 v19, v21, v23
	v_mul_f64 v[2:3], v[2:3], s[4:5]
	v_cvt_f32_f16_e32 v10, v22
	s_or_b32 s0, s1, s0
	v_add_nc_u32_e32 v17, 0xfffffc10, v17
	v_add_co_ci_u32_e64 v21, s0, 0, v9, s0
	v_cmp_ne_u32_e64 s0, v19, v20
	v_cvt_f64_f32_e32 v[9:10], v10
	v_mul_f16_sdwa v13, v63, v13 dst_sel:DWORD dst_unused:UNUSED_PAD src0_sel:WORD_1 src1_sel:DWORD
	v_lshl_or_b32 v20, v17, 12, v12
	v_cndmask_b32_e64 v19, 0, 1, s0
	v_cmp_ne_u32_e64 s0, 0, v0
	v_fma_f16 v13, v63, v14, -v13
	v_or_b32_e32 v19, v23, v19
	v_cndmask_b32_e64 v0, 0, 1, s0
	v_cmp_gt_i32_e64 s0, 31, v15
	v_cvt_f32_f16_e32 v13, v13
	v_lshl_or_b32 v0, v0, 9, 0x7c00
	v_cndmask_b32_e64 v14, 0x7c00, v21, s0
	v_cmp_gt_i32_e64 s0, 1, v17
	v_and_or_b32 v2, 0x1ff, v3, v2
	v_bfe_u32 v21, v3, 20, 11
	v_cndmask_b32_e64 v19, v20, v19, s0
	v_cmp_eq_u32_e64 s0, 0x40f, v15
	v_mul_f64 v[9:10], v[9:10], s[4:5]
	v_lshrrev_b32_e32 v15, 16, v1
	v_lshrrev_b32_e32 v20, 8, v3
	;; [unrolled: 1-line block ×3, first 2 shown]
	v_cndmask_b32_e64 v14, v14, v0, s0
	v_cvt_f64_f32_e32 v[0:1], v13
	v_cmp_ne_u32_e64 s0, 0, v2
	v_and_b32_e32 v13, 7, v19
	v_and_or_b32 v14, 0x8000, v15, v14
	v_and_b32_e32 v15, 0xffff, v18
	v_cndmask_b32_e64 v2, 0, 1, s0
	v_cmp_lt_i32_e64 s0, 5, v13
	v_cmp_eq_u32_e64 s1, 3, v13
	v_sub_nc_u32_e32 v18, 0x3f1, v21
	v_lshl_or_b32 v13, v14, 16, v15
	v_lshrrev_b32_e32 v14, 2, v19
	v_and_or_b32 v2, 0xffe, v20, v2
	s_or_b32 s0, s1, s0
	v_med3_i32 v18, v18, 0, 13
	v_add_co_ci_u32_e64 v14, s0, 0, v14, s0
	v_or_b32_e32 v15, 0x1000, v2
	v_cmp_ne_u32_e64 s0, 0, v12
	v_and_or_b32 v9, 0x1ff, v10, v9
	v_lshrrev_b32_e32 v20, 8, v10
	v_mul_f64 v[0:1], v[0:1], s[4:5]
	v_lshrrev_b32_e32 v19, v18, v15
	v_cndmask_b32_e64 v12, 0, 1, s0
	v_cmp_gt_i32_e64 s0, 31, v17
	v_bfe_u32 v22, v10, 20, 11
	v_lshrrev_b32_e32 v10, 16, v10
	v_lshlrev_b32_e32 v18, v18, v19
	v_lshl_or_b32 v12, v12, 9, 0x7c00
	v_cndmask_b32_e64 v14, 0x7c00, v14, s0
	v_cmp_ne_u32_e64 s0, 0, v9
	v_cndmask_b32_e64 v9, 0, 1, s0
	v_cmp_ne_u32_e64 s0, v18, v15
	v_add_nc_u32_e32 v18, 0xfffffc10, v21
	v_and_or_b32 v9, 0xffe, v20, v9
	v_cndmask_b32_e64 v15, 0, 1, s0
	v_sub_nc_u32_e32 v20, 0x3f1, v22
	v_cmp_eq_u32_e64 s0, 0x40f, v17
	v_and_or_b32 v0, 0x1ff, v1, v0
	v_or_b32_e32 v17, 0x1000, v9
	v_bfe_u32 v21, v1, 20, 11
	v_cndmask_b32_e64 v12, v14, v12, s0
	v_or_b32_e32 v14, v19, v15
	v_lshl_or_b32 v15, v18, 12, v2
	v_med3_i32 v19, v20, 0, 13
	v_cmp_gt_i32_e64 s0, 1, v18
	v_lshrrev_b32_e32 v20, 8, v1
	v_and_or_b32 v4, 0x8000, v4, v12
	v_sub_nc_u32_e32 v12, 0x3f1, v21
	v_lshrrev_b32_e32 v1, 16, v1
	v_cndmask_b32_e64 v14, v15, v14, s0
	v_lshrrev_b32_e32 v15, v19, v17
	v_cmp_ne_u32_e64 s0, 0, v0
	v_med3_i32 v12, v12, 0, 13
	v_and_b32_e32 v4, 0xffff, v4
	v_and_b32_e32 v23, 7, v14
	v_lshlrev_b32_e32 v19, v19, v15
	v_cndmask_b32_e64 v0, 0, 1, s0
	v_lshrrev_b32_e32 v14, 2, v14
	v_cmp_lt_i32_e64 s0, 5, v23
	v_cmp_ne_u32_e64 s1, v19, v17
	v_and_or_b32 v0, 0xffe, v20, v0
	v_add_nc_u32_e32 v20, 0xfffffc10, v22
	v_cndmask_b32_e64 v17, 0, 1, s1
	v_cmp_eq_u32_e64 s1, 3, v23
	v_or_b32_e32 v19, 0x1000, v0
	v_lshl_or_b32 v22, v20, 12, v9
	v_or_b32_e32 v15, v15, v17
	s_or_b32 s0, s1, s0
	v_lshrrev_b32_e32 v17, v12, v19
	v_add_co_ci_u32_e64 v14, s0, 0, v14, s0
	v_cmp_gt_i32_e64 s0, 1, v20
	v_lshlrev_b32_e32 v12, v12, v17
	v_cndmask_b32_e64 v15, v22, v15, s0
	v_cmp_ne_u32_e64 s0, 0, v2
	v_cndmask_b32_e64 v2, 0, 1, s0
	v_cmp_ne_u32_e64 s0, v12, v19
	v_add_nc_u32_e32 v19, 0xfffffc10, v21
	v_and_b32_e32 v21, 7, v15
	v_lshl_or_b32 v2, v2, 9, 0x7c00
	v_cndmask_b32_e64 v12, 0, 1, s0
	v_cmp_gt_i32_e64 s0, 31, v18
	v_cmp_gt_i32_e64 s2, 1, v19
	v_cmp_eq_u32_e64 s1, 3, v21
	v_or_b32_e32 v12, v17, v12
	v_lshl_or_b32 v17, v19, 12, v0
	v_cndmask_b32_e64 v14, 0x7c00, v14, s0
	v_cmp_lt_i32_e64 s0, 5, v21
	v_cndmask_b32_e64 v12, v17, v12, s2
	v_cmp_eq_u32_e64 s2, 0x40f, v18
	s_or_b32 s0, s1, s0
	v_cndmask_b32_e64 v2, v14, v2, s2
	v_lshrrev_b32_e32 v14, 2, v15
	v_and_b32_e32 v15, 7, v12
	v_lshrrev_b32_e32 v12, 2, v12
	v_cmp_gt_i32_e64 s2, 31, v20
	v_add_co_ci_u32_e64 v14, s0, 0, v14, s0
	v_cmp_ne_u32_e64 s0, 0, v9
	v_cmp_eq_u32_e64 s1, 3, v15
	v_cndmask_b32_e64 v14, 0x7c00, v14, s2
	v_cndmask_b32_e64 v9, 0, 1, s0
	v_cmp_lt_i32_e64 s0, 5, v15
	v_lshl_or_b32 v9, v9, 9, 0x7c00
	s_or_b32 s0, s1, s0
	v_add_co_ci_u32_e64 v12, s0, 0, v12, s0
	v_cmp_ne_u32_e64 s0, 0, v0
	v_cndmask_b32_e64 v0, 0, 1, s0
	v_cmp_eq_u32_e64 s0, 0x40f, v20
	v_lshl_or_b32 v0, v0, 9, 0x7c00
	v_cndmask_b32_e64 v9, v14, v9, s0
	v_cmp_gt_i32_e64 s0, 31, v19
	v_and_or_b32 v14, 0x8000, v3, v2
	v_and_or_b32 v9, 0x8000, v10, v9
	v_cndmask_b32_e64 v12, 0x7c00, v12, s0
	v_cmp_eq_u32_e64 s0, 0x40f, v19
	v_lshl_or_b32 v4, v14, 16, v4
	v_cndmask_b32_e64 v0, v12, v0, s0
	v_add_co_u32 v2, s0, v7, s8
	v_add_co_ci_u32_e64 v3, s0, s9, v8, s0
	v_and_or_b32 v0, 0x8000, v1, v0
	v_and_b32_e32 v1, 0xffff, v9
	v_add_co_u32 v9, s0, v2, s6
	v_add_co_ci_u32_e64 v10, s0, s7, v3, s0
	v_lshl_or_b32 v12, v0, 16, v1
	v_add_co_u32 v0, s0, v9, s6
	v_add_co_ci_u32_e64 v1, s0, s7, v10, s0
	global_store_dword v[5:6], v16, off
	global_store_dword v[7:8], v11, off
	;; [unrolled: 1-line block ×5, first 2 shown]
	s_and_b32 exec_lo, exec_lo, vcc_lo
	s_cbranch_execz .LBB0_31
; %bb.30:
	global_load_dword v4, v[43:44], off offset:112
	v_add_nc_u32_e32 v2, 0x70, v62
	ds_read2st64_b32 v[2:3], v2 offset0:8 offset1:17
	s_waitcnt lgkmcnt(0)
	v_lshrrev_b32_e32 v5, 16, v2
	s_waitcnt vmcnt(0)
	v_mul_f16_sdwa v6, v5, v4 dst_sel:DWORD dst_unused:UNUSED_PAD src0_sel:DWORD src1_sel:WORD_1
	v_mul_f16_sdwa v7, v2, v4 dst_sel:DWORD dst_unused:UNUSED_PAD src0_sel:DWORD src1_sel:WORD_1
	v_fmac_f16_e32 v6, v2, v4
	v_fma_f16 v2, v4, v5, -v7
	v_cvt_f32_f16_e32 v4, v6
	v_cvt_f32_f16_e32 v2, v2
	v_cvt_f64_f32_e32 v[4:5], v4
	v_cvt_f64_f32_e32 v[6:7], v2
	v_mul_f64 v[4:5], v[4:5], s[4:5]
	v_mul_f64 v[6:7], v[6:7], s[4:5]
	v_and_or_b32 v2, 0x1ff, v5, v4
	v_and_or_b32 v6, 0x1ff, v7, v6
	v_lshrrev_b32_e32 v4, 8, v5
	v_bfe_u32 v8, v5, 20, 11
	v_lshrrev_b32_e32 v9, 8, v7
	v_cmp_ne_u32_e32 vcc_lo, 0, v2
	v_bfe_u32 v10, v7, 20, 11
	v_lshrrev_b32_e32 v5, 16, v5
	v_sub_nc_u32_e32 v11, 0x3f1, v8
	v_add_nc_u32_e32 v8, 0xfffffc10, v8
	v_cndmask_b32_e64 v2, 0, 1, vcc_lo
	v_cmp_ne_u32_e32 vcc_lo, 0, v6
	v_lshrrev_b32_e32 v7, 16, v7
	v_and_or_b32 v2, 0xffe, v4, v2
	v_cndmask_b32_e64 v6, 0, 1, vcc_lo
	v_sub_nc_u32_e32 v4, 0x3f1, v10
	v_add_nc_u32_e32 v10, 0xfffffc10, v10
	v_and_or_b32 v6, 0xffe, v9, v6
	v_med3_i32 v9, v11, 0, 13
	v_or_b32_e32 v11, 0x1000, v2
	v_med3_i32 v4, v4, 0, 13
	v_or_b32_e32 v12, 0x1000, v6
	v_lshrrev_b32_e32 v13, v9, v11
	v_lshrrev_b32_e32 v14, v4, v12
	v_lshlrev_b32_e32 v9, v9, v13
	v_lshlrev_b32_e32 v4, v4, v14
	v_cmp_ne_u32_e32 vcc_lo, v9, v11
	v_lshl_or_b32 v11, v8, 12, v2
	v_cndmask_b32_e64 v9, 0, 1, vcc_lo
	v_cmp_ne_u32_e32 vcc_lo, v4, v12
	v_lshl_or_b32 v12, v10, 12, v6
	v_or_b32_e32 v9, v13, v9
	v_cndmask_b32_e64 v4, 0, 1, vcc_lo
	v_cmp_gt_i32_e32 vcc_lo, 1, v8
	v_or_b32_e32 v4, v14, v4
	v_cndmask_b32_e32 v9, v11, v9, vcc_lo
	v_cmp_gt_i32_e32 vcc_lo, 1, v10
	v_and_b32_e32 v11, 7, v9
	v_cndmask_b32_e32 v4, v12, v4, vcc_lo
	v_cmp_ne_u32_e32 vcc_lo, 0, v2
	v_lshrrev_b32_e32 v9, 2, v9
	v_cmp_eq_u32_e64 s0, 3, v11
	v_and_b32_e32 v12, 7, v4
	v_cndmask_b32_e64 v2, 0, 1, vcc_lo
	v_cmp_ne_u32_e32 vcc_lo, 0, v6
	v_lshrrev_b32_e32 v4, 2, v4
	v_cmp_lt_i32_e64 s1, 5, v12
	v_cmp_eq_u32_e64 s2, 3, v12
	v_cndmask_b32_e64 v6, 0, 1, vcc_lo
	v_cmp_lt_i32_e32 vcc_lo, 5, v11
	v_lshl_or_b32 v2, v2, 9, 0x7c00
	v_lshl_or_b32 v6, v6, 9, 0x7c00
	s_or_b32 vcc_lo, s0, vcc_lo
	v_add_co_ci_u32_e32 v9, vcc_lo, 0, v9, vcc_lo
	s_or_b32 vcc_lo, s2, s1
	v_add_co_ci_u32_e32 v4, vcc_lo, 0, v4, vcc_lo
	v_cmp_gt_i32_e32 vcc_lo, 31, v8
	v_cndmask_b32_e32 v9, 0x7c00, v9, vcc_lo
	v_cmp_gt_i32_e32 vcc_lo, 31, v10
	v_cndmask_b32_e32 v4, 0x7c00, v4, vcc_lo
	v_cmp_eq_u32_e32 vcc_lo, 0x40f, v8
	v_cndmask_b32_e32 v2, v9, v2, vcc_lo
	v_cmp_eq_u32_e32 vcc_lo, 0x40f, v10
	v_and_or_b32 v2, 0x8000, v5, v2
	v_cndmask_b32_e32 v4, v4, v6, vcc_lo
	v_add_co_u32 v0, vcc_lo, v0, s8
	v_add_co_ci_u32_e32 v1, vcc_lo, s9, v1, vcc_lo
	v_and_or_b32 v4, 0x8000, v7, v4
	v_and_b32_e32 v2, 0xffff, v2
	v_lshl_or_b32 v2, v4, 16, v2
	v_lshrrev_b32_e32 v4, 16, v3
	global_store_dword v[0:1], v2, off
	global_load_dword v2, v[39:40], off offset:368
	s_waitcnt vmcnt(0)
	v_mul_f16_sdwa v5, v4, v2 dst_sel:DWORD dst_unused:UNUSED_PAD src0_sel:DWORD src1_sel:WORD_1
	v_mul_f16_sdwa v6, v3, v2 dst_sel:DWORD dst_unused:UNUSED_PAD src0_sel:DWORD src1_sel:WORD_1
	v_fmac_f16_e32 v5, v3, v2
	v_fma_f16 v2, v2, v4, -v6
	v_cvt_f32_f16_e32 v3, v5
	v_cvt_f32_f16_e32 v4, v2
	v_cvt_f64_f32_e32 v[2:3], v3
	v_cvt_f64_f32_e32 v[4:5], v4
	v_mul_f64 v[2:3], v[2:3], s[4:5]
	v_mul_f64 v[4:5], v[4:5], s[4:5]
	v_and_or_b32 v2, 0x1ff, v3, v2
	v_and_or_b32 v4, 0x1ff, v5, v4
	v_lshrrev_b32_e32 v6, 8, v3
	v_bfe_u32 v7, v3, 20, 11
	v_lshrrev_b32_e32 v8, 8, v5
	v_cmp_ne_u32_e32 vcc_lo, 0, v2
	v_bfe_u32 v9, v5, 20, 11
	v_lshrrev_b32_e32 v3, 16, v3
	v_sub_nc_u32_e32 v10, 0x3f1, v7
	v_add_nc_u32_e32 v7, 0xfffffc10, v7
	v_cndmask_b32_e64 v2, 0, 1, vcc_lo
	v_cmp_ne_u32_e32 vcc_lo, 0, v4
	v_lshrrev_b32_e32 v5, 16, v5
	v_and_or_b32 v2, 0xffe, v6, v2
	v_cndmask_b32_e64 v4, 0, 1, vcc_lo
	v_sub_nc_u32_e32 v6, 0x3f1, v9
	v_add_nc_u32_e32 v9, 0xfffffc10, v9
	v_and_or_b32 v4, 0xffe, v8, v4
	v_med3_i32 v8, v10, 0, 13
	v_or_b32_e32 v10, 0x1000, v2
	v_med3_i32 v6, v6, 0, 13
	v_or_b32_e32 v11, 0x1000, v4
	v_lshrrev_b32_e32 v12, v8, v10
	v_lshrrev_b32_e32 v13, v6, v11
	v_lshlrev_b32_e32 v8, v8, v12
	v_lshlrev_b32_e32 v6, v6, v13
	v_cmp_ne_u32_e32 vcc_lo, v8, v10
	v_lshl_or_b32 v10, v7, 12, v2
	v_cndmask_b32_e64 v8, 0, 1, vcc_lo
	v_cmp_ne_u32_e32 vcc_lo, v6, v11
	v_lshl_or_b32 v11, v9, 12, v4
	v_or_b32_e32 v8, v12, v8
	v_cndmask_b32_e64 v6, 0, 1, vcc_lo
	v_cmp_gt_i32_e32 vcc_lo, 1, v7
	v_or_b32_e32 v6, v13, v6
	v_cndmask_b32_e32 v8, v10, v8, vcc_lo
	v_cmp_gt_i32_e32 vcc_lo, 1, v9
	v_and_b32_e32 v10, 7, v8
	v_cndmask_b32_e32 v6, v11, v6, vcc_lo
	v_cmp_ne_u32_e32 vcc_lo, 0, v2
	v_lshrrev_b32_e32 v8, 2, v8
	v_cmp_eq_u32_e64 s0, 3, v10
	v_and_b32_e32 v11, 7, v6
	v_cndmask_b32_e64 v2, 0, 1, vcc_lo
	v_cmp_ne_u32_e32 vcc_lo, 0, v4
	v_lshrrev_b32_e32 v6, 2, v6
	v_cmp_lt_i32_e64 s1, 5, v11
	v_cmp_eq_u32_e64 s2, 3, v11
	v_cndmask_b32_e64 v4, 0, 1, vcc_lo
	v_cmp_lt_i32_e32 vcc_lo, 5, v10
	v_lshl_or_b32 v2, v2, 9, 0x7c00
	v_lshl_or_b32 v4, v4, 9, 0x7c00
	s_or_b32 vcc_lo, s0, vcc_lo
	v_add_co_ci_u32_e32 v8, vcc_lo, 0, v8, vcc_lo
	s_or_b32 vcc_lo, s2, s1
	v_add_co_ci_u32_e32 v6, vcc_lo, 0, v6, vcc_lo
	v_cmp_gt_i32_e32 vcc_lo, 31, v7
	v_cndmask_b32_e32 v8, 0x7c00, v8, vcc_lo
	v_cmp_gt_i32_e32 vcc_lo, 31, v9
	v_cndmask_b32_e32 v6, 0x7c00, v6, vcc_lo
	v_cmp_eq_u32_e32 vcc_lo, 0x40f, v7
	v_cndmask_b32_e32 v2, v8, v2, vcc_lo
	v_cmp_eq_u32_e32 vcc_lo, 0x40f, v9
	v_and_or_b32 v2, 0x8000, v3, v2
	v_cndmask_b32_e32 v4, v6, v4, vcc_lo
	v_add_co_u32 v0, vcc_lo, v0, s6
	v_add_co_ci_u32_e32 v1, vcc_lo, s7, v1, vcc_lo
	v_and_or_b32 v3, 0x8000, v5, v4
	v_and_b32_e32 v2, 0xffff, v2
	v_lshl_or_b32 v2, v3, 16, v2
	ds_read_b32 v3, v62 offset:6768
	global_store_dword v[0:1], v2, off
	global_load_dword v2, v[41:42], off offset:624
	s_waitcnt lgkmcnt(0)
	v_lshrrev_b32_e32 v4, 16, v3
	s_waitcnt vmcnt(0)
	v_mul_f16_sdwa v5, v4, v2 dst_sel:DWORD dst_unused:UNUSED_PAD src0_sel:DWORD src1_sel:WORD_1
	v_mul_f16_sdwa v6, v3, v2 dst_sel:DWORD dst_unused:UNUSED_PAD src0_sel:DWORD src1_sel:WORD_1
	v_fmac_f16_e32 v5, v3, v2
	v_fma_f16 v2, v2, v4, -v6
	v_cvt_f32_f16_e32 v3, v5
	v_cvt_f32_f16_e32 v4, v2
	v_cvt_f64_f32_e32 v[2:3], v3
	v_cvt_f64_f32_e32 v[4:5], v4
	v_mul_f64 v[2:3], v[2:3], s[4:5]
	v_mul_f64 v[4:5], v[4:5], s[4:5]
	v_and_or_b32 v2, 0x1ff, v3, v2
	v_and_or_b32 v4, 0x1ff, v5, v4
	v_lshrrev_b32_e32 v6, 8, v3
	v_bfe_u32 v7, v3, 20, 11
	v_lshrrev_b32_e32 v8, 8, v5
	v_cmp_ne_u32_e32 vcc_lo, 0, v2
	v_bfe_u32 v9, v5, 20, 11
	v_lshrrev_b32_e32 v3, 16, v3
	v_sub_nc_u32_e32 v10, 0x3f1, v7
	v_add_nc_u32_e32 v7, 0xfffffc10, v7
	v_cndmask_b32_e64 v2, 0, 1, vcc_lo
	v_cmp_ne_u32_e32 vcc_lo, 0, v4
	v_lshrrev_b32_e32 v5, 16, v5
	v_and_or_b32 v2, 0xffe, v6, v2
	v_cndmask_b32_e64 v4, 0, 1, vcc_lo
	v_sub_nc_u32_e32 v6, 0x3f1, v9
	v_add_nc_u32_e32 v9, 0xfffffc10, v9
	v_and_or_b32 v4, 0xffe, v8, v4
	v_med3_i32 v8, v10, 0, 13
	v_or_b32_e32 v10, 0x1000, v2
	v_med3_i32 v6, v6, 0, 13
	v_or_b32_e32 v11, 0x1000, v4
	v_lshrrev_b32_e32 v12, v8, v10
	v_lshrrev_b32_e32 v13, v6, v11
	v_lshlrev_b32_e32 v8, v8, v12
	v_lshlrev_b32_e32 v6, v6, v13
	v_cmp_ne_u32_e32 vcc_lo, v8, v10
	v_lshl_or_b32 v10, v7, 12, v2
	v_cndmask_b32_e64 v8, 0, 1, vcc_lo
	v_cmp_ne_u32_e32 vcc_lo, v6, v11
	v_lshl_or_b32 v11, v9, 12, v4
	v_or_b32_e32 v8, v12, v8
	v_cndmask_b32_e64 v6, 0, 1, vcc_lo
	v_cmp_gt_i32_e32 vcc_lo, 1, v7
	v_or_b32_e32 v6, v13, v6
	v_cndmask_b32_e32 v8, v10, v8, vcc_lo
	v_cmp_gt_i32_e32 vcc_lo, 1, v9
	v_and_b32_e32 v10, 7, v8
	v_cndmask_b32_e32 v6, v11, v6, vcc_lo
	v_cmp_ne_u32_e32 vcc_lo, 0, v2
	v_lshrrev_b32_e32 v8, 2, v8
	v_cmp_eq_u32_e64 s0, 3, v10
	v_and_b32_e32 v11, 7, v6
	v_cndmask_b32_e64 v2, 0, 1, vcc_lo
	v_cmp_ne_u32_e32 vcc_lo, 0, v4
	v_lshrrev_b32_e32 v6, 2, v6
	v_cmp_lt_i32_e64 s1, 5, v11
	v_cmp_eq_u32_e64 s2, 3, v11
	v_cndmask_b32_e64 v4, 0, 1, vcc_lo
	v_cmp_lt_i32_e32 vcc_lo, 5, v10
	v_lshl_or_b32 v2, v2, 9, 0x7c00
	v_lshl_or_b32 v4, v4, 9, 0x7c00
	s_or_b32 vcc_lo, s0, vcc_lo
	v_add_co_ci_u32_e32 v8, vcc_lo, 0, v8, vcc_lo
	s_or_b32 vcc_lo, s2, s1
	v_add_co_ci_u32_e32 v6, vcc_lo, 0, v6, vcc_lo
	v_cmp_gt_i32_e32 vcc_lo, 31, v7
	v_cndmask_b32_e32 v8, 0x7c00, v8, vcc_lo
	v_cmp_gt_i32_e32 vcc_lo, 31, v9
	v_cndmask_b32_e32 v6, 0x7c00, v6, vcc_lo
	v_cmp_eq_u32_e32 vcc_lo, 0x40f, v7
	v_cndmask_b32_e32 v2, v8, v2, vcc_lo
	v_cmp_eq_u32_e32 vcc_lo, 0x40f, v9
	v_and_or_b32 v2, 0x8000, v3, v2
	v_cndmask_b32_e32 v4, v6, v4, vcc_lo
	v_add_co_u32 v0, vcc_lo, v0, s6
	v_add_co_ci_u32_e32 v1, vcc_lo, s7, v1, vcc_lo
	v_and_or_b32 v3, 0x8000, v5, v4
	v_and_b32_e32 v2, 0xffff, v2
	v_lshl_or_b32 v2, v3, 16, v2
	global_store_dword v[0:1], v2, off
.LBB0_31:
	s_endpgm
	.section	.rodata,"a",@progbits
	.p2align	6, 0x0
	.amdhsa_kernel bluestein_single_fwd_len1728_dim1_half_op_CI_CI
		.amdhsa_group_segment_fixed_size 6912
		.amdhsa_private_segment_fixed_size 0
		.amdhsa_kernarg_size 104
		.amdhsa_user_sgpr_count 6
		.amdhsa_user_sgpr_private_segment_buffer 1
		.amdhsa_user_sgpr_dispatch_ptr 0
		.amdhsa_user_sgpr_queue_ptr 0
		.amdhsa_user_sgpr_kernarg_segment_ptr 1
		.amdhsa_user_sgpr_dispatch_id 0
		.amdhsa_user_sgpr_flat_scratch_init 0
		.amdhsa_user_sgpr_private_segment_size 0
		.amdhsa_wavefront_size32 1
		.amdhsa_uses_dynamic_stack 0
		.amdhsa_system_sgpr_private_segment_wavefront_offset 0
		.amdhsa_system_sgpr_workgroup_id_x 1
		.amdhsa_system_sgpr_workgroup_id_y 0
		.amdhsa_system_sgpr_workgroup_id_z 0
		.amdhsa_system_sgpr_workgroup_info 0
		.amdhsa_system_vgpr_workitem_id 0
		.amdhsa_next_free_vgpr 157
		.amdhsa_next_free_sgpr 16
		.amdhsa_reserve_vcc 1
		.amdhsa_reserve_flat_scratch 0
		.amdhsa_float_round_mode_32 0
		.amdhsa_float_round_mode_16_64 0
		.amdhsa_float_denorm_mode_32 3
		.amdhsa_float_denorm_mode_16_64 3
		.amdhsa_dx10_clamp 1
		.amdhsa_ieee_mode 1
		.amdhsa_fp16_overflow 0
		.amdhsa_workgroup_processor_mode 1
		.amdhsa_memory_ordered 1
		.amdhsa_forward_progress 0
		.amdhsa_shared_vgpr_count 0
		.amdhsa_exception_fp_ieee_invalid_op 0
		.amdhsa_exception_fp_denorm_src 0
		.amdhsa_exception_fp_ieee_div_zero 0
		.amdhsa_exception_fp_ieee_overflow 0
		.amdhsa_exception_fp_ieee_underflow 0
		.amdhsa_exception_fp_ieee_inexact 0
		.amdhsa_exception_int_div_zero 0
	.end_amdhsa_kernel
	.text
.Lfunc_end0:
	.size	bluestein_single_fwd_len1728_dim1_half_op_CI_CI, .Lfunc_end0-bluestein_single_fwd_len1728_dim1_half_op_CI_CI
                                        ; -- End function
	.section	.AMDGPU.csdata,"",@progbits
; Kernel info:
; codeLenInByte = 27364
; NumSgprs: 18
; NumVgprs: 157
; ScratchSize: 0
; MemoryBound: 0
; FloatMode: 240
; IeeeMode: 1
; LDSByteSize: 6912 bytes/workgroup (compile time only)
; SGPRBlocks: 2
; VGPRBlocks: 19
; NumSGPRsForWavesPerEU: 18
; NumVGPRsForWavesPerEU: 157
; Occupancy: 6
; WaveLimiterHint : 1
; COMPUTE_PGM_RSRC2:SCRATCH_EN: 0
; COMPUTE_PGM_RSRC2:USER_SGPR: 6
; COMPUTE_PGM_RSRC2:TRAP_HANDLER: 0
; COMPUTE_PGM_RSRC2:TGID_X_EN: 1
; COMPUTE_PGM_RSRC2:TGID_Y_EN: 0
; COMPUTE_PGM_RSRC2:TGID_Z_EN: 0
; COMPUTE_PGM_RSRC2:TIDIG_COMP_CNT: 0
	.text
	.p2alignl 6, 3214868480
	.fill 48, 4, 3214868480
	.type	__hip_cuid_485d03c97b97d5d8,@object ; @__hip_cuid_485d03c97b97d5d8
	.section	.bss,"aw",@nobits
	.globl	__hip_cuid_485d03c97b97d5d8
__hip_cuid_485d03c97b97d5d8:
	.byte	0                               ; 0x0
	.size	__hip_cuid_485d03c97b97d5d8, 1

	.ident	"AMD clang version 19.0.0git (https://github.com/RadeonOpenCompute/llvm-project roc-6.4.0 25133 c7fe45cf4b819c5991fe208aaa96edf142730f1d)"
	.section	".note.GNU-stack","",@progbits
	.addrsig
	.addrsig_sym __hip_cuid_485d03c97b97d5d8
	.amdgpu_metadata
---
amdhsa.kernels:
  - .args:
      - .actual_access:  read_only
        .address_space:  global
        .offset:         0
        .size:           8
        .value_kind:     global_buffer
      - .actual_access:  read_only
        .address_space:  global
        .offset:         8
        .size:           8
        .value_kind:     global_buffer
      - .actual_access:  read_only
        .address_space:  global
        .offset:         16
        .size:           8
        .value_kind:     global_buffer
      - .actual_access:  read_only
        .address_space:  global
        .offset:         24
        .size:           8
        .value_kind:     global_buffer
      - .actual_access:  read_only
        .address_space:  global
        .offset:         32
        .size:           8
        .value_kind:     global_buffer
      - .offset:         40
        .size:           8
        .value_kind:     by_value
      - .address_space:  global
        .offset:         48
        .size:           8
        .value_kind:     global_buffer
      - .address_space:  global
        .offset:         56
        .size:           8
        .value_kind:     global_buffer
      - .address_space:  global
        .offset:         64
        .size:           8
        .value_kind:     global_buffer
      - .address_space:  global
        .offset:         72
        .size:           8
        .value_kind:     global_buffer
      - .offset:         80
        .size:           4
        .value_kind:     by_value
      - .address_space:  global
        .offset:         88
        .size:           8
        .value_kind:     global_buffer
      - .address_space:  global
        .offset:         96
        .size:           8
        .value_kind:     global_buffer
    .group_segment_fixed_size: 6912
    .kernarg_segment_align: 8
    .kernarg_segment_size: 104
    .language:       OpenCL C
    .language_version:
      - 2
      - 0
    .max_flat_workgroup_size: 108
    .name:           bluestein_single_fwd_len1728_dim1_half_op_CI_CI
    .private_segment_fixed_size: 0
    .sgpr_count:     18
    .sgpr_spill_count: 0
    .symbol:         bluestein_single_fwd_len1728_dim1_half_op_CI_CI.kd
    .uniform_work_group_size: 1
    .uses_dynamic_stack: false
    .vgpr_count:     157
    .vgpr_spill_count: 0
    .wavefront_size: 32
    .workgroup_processor_mode: 1
amdhsa.target:   amdgcn-amd-amdhsa--gfx1030
amdhsa.version:
  - 1
  - 2
...

	.end_amdgpu_metadata
